;; amdgpu-corpus repo=ROCm/rocFFT kind=compiled arch=gfx906 opt=O3
	.text
	.amdgcn_target "amdgcn-amd-amdhsa--gfx906"
	.amdhsa_code_object_version 6
	.protected	fft_rtc_fwd_len864_factors_3_6_16_3_wgs_54_tpt_54_halfLds_dp_ip_CI_sbrr_dirReg ; -- Begin function fft_rtc_fwd_len864_factors_3_6_16_3_wgs_54_tpt_54_halfLds_dp_ip_CI_sbrr_dirReg
	.globl	fft_rtc_fwd_len864_factors_3_6_16_3_wgs_54_tpt_54_halfLds_dp_ip_CI_sbrr_dirReg
	.p2align	8
	.type	fft_rtc_fwd_len864_factors_3_6_16_3_wgs_54_tpt_54_halfLds_dp_ip_CI_sbrr_dirReg,@function
fft_rtc_fwd_len864_factors_3_6_16_3_wgs_54_tpt_54_halfLds_dp_ip_CI_sbrr_dirReg: ; @fft_rtc_fwd_len864_factors_3_6_16_3_wgs_54_tpt_54_halfLds_dp_ip_CI_sbrr_dirReg
; %bb.0:
	s_load_dwordx2 s[2:3], s[4:5], 0x18
	s_load_dwordx4 s[8:11], s[4:5], 0x0
	s_load_dwordx2 s[14:15], s[4:5], 0x50
	v_mul_u32_u24_e32 v1, 0x4be, v0
	v_add_u32_sdwa v5, s6, v1 dst_sel:DWORD dst_unused:UNUSED_PAD src0_sel:DWORD src1_sel:WORD_1
	s_waitcnt lgkmcnt(0)
	s_load_dwordx2 s[12:13], s[2:3], 0x0
	v_cmp_lt_u64_e64 s[0:1], s[10:11], 2
	v_mov_b32_e32 v3, 0
	v_mov_b32_e32 v1, 0
	;; [unrolled: 1-line block ×3, first 2 shown]
	s_and_b64 vcc, exec, s[0:1]
	v_mov_b32_e32 v2, 0
	s_cbranch_vccnz .LBB0_8
; %bb.1:
	s_load_dwordx2 s[0:1], s[4:5], 0x10
	s_add_u32 s6, s2, 8
	s_addc_u32 s7, s3, 0
	v_mov_b32_e32 v1, 0
	v_mov_b32_e32 v2, 0
	s_waitcnt lgkmcnt(0)
	s_add_u32 s16, s0, 8
	s_addc_u32 s17, s1, 0
	s_mov_b64 s[18:19], 1
.LBB0_2:                                ; =>This Inner Loop Header: Depth=1
	s_load_dwordx2 s[20:21], s[16:17], 0x0
                                        ; implicit-def: $vgpr7_vgpr8
	s_waitcnt lgkmcnt(0)
	v_or_b32_e32 v4, s21, v6
	v_cmp_ne_u64_e32 vcc, 0, v[3:4]
	s_and_saveexec_b64 s[0:1], vcc
	s_xor_b64 s[22:23], exec, s[0:1]
	s_cbranch_execz .LBB0_4
; %bb.3:                                ;   in Loop: Header=BB0_2 Depth=1
	v_cvt_f32_u32_e32 v4, s20
	v_cvt_f32_u32_e32 v7, s21
	s_sub_u32 s0, 0, s20
	s_subb_u32 s1, 0, s21
	v_mac_f32_e32 v4, 0x4f800000, v7
	v_rcp_f32_e32 v4, v4
	v_mul_f32_e32 v4, 0x5f7ffffc, v4
	v_mul_f32_e32 v7, 0x2f800000, v4
	v_trunc_f32_e32 v7, v7
	v_mac_f32_e32 v4, 0xcf800000, v7
	v_cvt_u32_f32_e32 v7, v7
	v_cvt_u32_f32_e32 v4, v4
	v_mul_lo_u32 v8, s0, v7
	v_mul_hi_u32 v9, s0, v4
	v_mul_lo_u32 v11, s1, v4
	v_mul_lo_u32 v10, s0, v4
	v_add_u32_e32 v8, v9, v8
	v_add_u32_e32 v8, v8, v11
	v_mul_hi_u32 v9, v4, v10
	v_mul_lo_u32 v11, v4, v8
	v_mul_hi_u32 v13, v4, v8
	v_mul_hi_u32 v12, v7, v10
	v_mul_lo_u32 v10, v7, v10
	v_mul_hi_u32 v14, v7, v8
	v_add_co_u32_e32 v9, vcc, v9, v11
	v_addc_co_u32_e32 v11, vcc, 0, v13, vcc
	v_mul_lo_u32 v8, v7, v8
	v_add_co_u32_e32 v9, vcc, v9, v10
	v_addc_co_u32_e32 v9, vcc, v11, v12, vcc
	v_addc_co_u32_e32 v10, vcc, 0, v14, vcc
	v_add_co_u32_e32 v8, vcc, v9, v8
	v_addc_co_u32_e32 v9, vcc, 0, v10, vcc
	v_add_co_u32_e32 v4, vcc, v4, v8
	v_addc_co_u32_e32 v7, vcc, v7, v9, vcc
	v_mul_lo_u32 v8, s0, v7
	v_mul_hi_u32 v9, s0, v4
	v_mul_lo_u32 v10, s1, v4
	v_mul_lo_u32 v11, s0, v4
	v_add_u32_e32 v8, v9, v8
	v_add_u32_e32 v8, v8, v10
	v_mul_lo_u32 v12, v4, v8
	v_mul_hi_u32 v13, v4, v11
	v_mul_hi_u32 v14, v4, v8
	;; [unrolled: 1-line block ×3, first 2 shown]
	v_mul_lo_u32 v11, v7, v11
	v_mul_hi_u32 v9, v7, v8
	v_add_co_u32_e32 v12, vcc, v13, v12
	v_addc_co_u32_e32 v13, vcc, 0, v14, vcc
	v_mul_lo_u32 v8, v7, v8
	v_add_co_u32_e32 v11, vcc, v12, v11
	v_addc_co_u32_e32 v10, vcc, v13, v10, vcc
	v_addc_co_u32_e32 v9, vcc, 0, v9, vcc
	v_add_co_u32_e32 v8, vcc, v10, v8
	v_addc_co_u32_e32 v9, vcc, 0, v9, vcc
	v_add_co_u32_e32 v4, vcc, v4, v8
	v_addc_co_u32_e32 v9, vcc, v7, v9, vcc
	v_mad_u64_u32 v[7:8], s[0:1], v5, v9, 0
	v_mul_hi_u32 v10, v5, v4
	v_add_co_u32_e32 v11, vcc, v10, v7
	v_addc_co_u32_e32 v12, vcc, 0, v8, vcc
	v_mad_u64_u32 v[7:8], s[0:1], v6, v4, 0
	v_mad_u64_u32 v[9:10], s[0:1], v6, v9, 0
	v_add_co_u32_e32 v4, vcc, v11, v7
	v_addc_co_u32_e32 v4, vcc, v12, v8, vcc
	v_addc_co_u32_e32 v7, vcc, 0, v10, vcc
	v_add_co_u32_e32 v4, vcc, v4, v9
	v_addc_co_u32_e32 v9, vcc, 0, v7, vcc
	v_mul_lo_u32 v10, s21, v4
	v_mul_lo_u32 v11, s20, v9
	v_mad_u64_u32 v[7:8], s[0:1], s20, v4, 0
	v_add3_u32 v8, v8, v11, v10
	v_sub_u32_e32 v10, v6, v8
	v_mov_b32_e32 v11, s21
	v_sub_co_u32_e32 v7, vcc, v5, v7
	v_subb_co_u32_e64 v10, s[0:1], v10, v11, vcc
	v_subrev_co_u32_e64 v11, s[0:1], s20, v7
	v_subbrev_co_u32_e64 v10, s[0:1], 0, v10, s[0:1]
	v_cmp_le_u32_e64 s[0:1], s21, v10
	v_cndmask_b32_e64 v12, 0, -1, s[0:1]
	v_cmp_le_u32_e64 s[0:1], s20, v11
	v_cndmask_b32_e64 v11, 0, -1, s[0:1]
	v_cmp_eq_u32_e64 s[0:1], s21, v10
	v_cndmask_b32_e64 v10, v12, v11, s[0:1]
	v_add_co_u32_e64 v11, s[0:1], 2, v4
	v_addc_co_u32_e64 v12, s[0:1], 0, v9, s[0:1]
	v_add_co_u32_e64 v13, s[0:1], 1, v4
	v_addc_co_u32_e64 v14, s[0:1], 0, v9, s[0:1]
	v_subb_co_u32_e32 v8, vcc, v6, v8, vcc
	v_cmp_ne_u32_e64 s[0:1], 0, v10
	v_cmp_le_u32_e32 vcc, s21, v8
	v_cndmask_b32_e64 v10, v14, v12, s[0:1]
	v_cndmask_b32_e64 v12, 0, -1, vcc
	v_cmp_le_u32_e32 vcc, s20, v7
	v_cndmask_b32_e64 v7, 0, -1, vcc
	v_cmp_eq_u32_e32 vcc, s21, v8
	v_cndmask_b32_e32 v7, v12, v7, vcc
	v_cmp_ne_u32_e32 vcc, 0, v7
	v_cndmask_b32_e64 v7, v13, v11, s[0:1]
	v_cndmask_b32_e32 v8, v9, v10, vcc
	v_cndmask_b32_e32 v7, v4, v7, vcc
.LBB0_4:                                ;   in Loop: Header=BB0_2 Depth=1
	s_andn2_saveexec_b64 s[0:1], s[22:23]
	s_cbranch_execz .LBB0_6
; %bb.5:                                ;   in Loop: Header=BB0_2 Depth=1
	v_cvt_f32_u32_e32 v4, s20
	s_sub_i32 s22, 0, s20
	v_rcp_iflag_f32_e32 v4, v4
	v_mul_f32_e32 v4, 0x4f7ffffe, v4
	v_cvt_u32_f32_e32 v4, v4
	v_mul_lo_u32 v7, s22, v4
	v_mul_hi_u32 v7, v4, v7
	v_add_u32_e32 v4, v4, v7
	v_mul_hi_u32 v4, v5, v4
	v_mul_lo_u32 v7, v4, s20
	v_add_u32_e32 v8, 1, v4
	v_sub_u32_e32 v7, v5, v7
	v_subrev_u32_e32 v9, s20, v7
	v_cmp_le_u32_e32 vcc, s20, v7
	v_cndmask_b32_e32 v7, v7, v9, vcc
	v_cndmask_b32_e32 v4, v4, v8, vcc
	v_add_u32_e32 v8, 1, v4
	v_cmp_le_u32_e32 vcc, s20, v7
	v_cndmask_b32_e32 v7, v4, v8, vcc
	v_mov_b32_e32 v8, v3
.LBB0_6:                                ;   in Loop: Header=BB0_2 Depth=1
	s_or_b64 exec, exec, s[0:1]
	v_mul_lo_u32 v4, v8, s20
	v_mul_lo_u32 v11, v7, s21
	v_mad_u64_u32 v[9:10], s[0:1], v7, s20, 0
	s_load_dwordx2 s[0:1], s[6:7], 0x0
	s_add_u32 s18, s18, 1
	v_add3_u32 v4, v10, v11, v4
	v_sub_co_u32_e32 v5, vcc, v5, v9
	v_subb_co_u32_e32 v4, vcc, v6, v4, vcc
	s_waitcnt lgkmcnt(0)
	v_mul_lo_u32 v4, s0, v4
	v_mul_lo_u32 v6, s1, v5
	v_mad_u64_u32 v[1:2], s[0:1], s0, v5, v[1:2]
	s_addc_u32 s19, s19, 0
	s_add_u32 s6, s6, 8
	v_add3_u32 v2, v6, v2, v4
	v_mov_b32_e32 v4, s10
	v_mov_b32_e32 v5, s11
	s_addc_u32 s7, s7, 0
	v_cmp_ge_u64_e32 vcc, s[18:19], v[4:5]
	s_add_u32 s16, s16, 8
	s_addc_u32 s17, s17, 0
	s_cbranch_vccnz .LBB0_9
; %bb.7:                                ;   in Loop: Header=BB0_2 Depth=1
	v_mov_b32_e32 v5, v7
	v_mov_b32_e32 v6, v8
	s_branch .LBB0_2
.LBB0_8:
	v_mov_b32_e32 v8, v6
	v_mov_b32_e32 v7, v5
.LBB0_9:
	s_lshl_b64 s[0:1], s[10:11], 3
	s_add_u32 s0, s2, s0
	s_addc_u32 s1, s3, s1
	s_load_dwordx2 s[2:3], s[0:1], 0x0
	s_load_dwordx2 s[6:7], s[4:5], 0x20
                                        ; implicit-def: $vgpr108
                                        ; implicit-def: $vgpr104
                                        ; implicit-def: $vgpr105
                                        ; implicit-def: $vgpr107
	s_waitcnt lgkmcnt(0)
	v_mad_u64_u32 v[1:2], s[0:1], s2, v7, v[1:2]
	s_mov_b32 s0, 0x4bda130
	v_mul_lo_u32 v3, s2, v8
	v_mul_lo_u32 v4, s3, v7
	v_mul_hi_u32 v5, v0, s0
	v_cmp_gt_u64_e32 vcc, s[6:7], v[7:8]
	v_cmp_le_u64_e64 s[0:1], s[6:7], v[7:8]
	v_add3_u32 v2, v4, v2, v3
	v_mul_u32_u24_e32 v3, 54, v5
	v_sub_u32_e32 v102, v0, v3
	v_add_u32_e32 v103, 54, v102
	s_and_saveexec_b64 s[2:3], s[0:1]
	s_xor_b64 s[0:1], exec, s[2:3]
; %bb.10:
	v_add_u32_e32 v108, 54, v102
	v_add_u32_e32 v104, 0x6c, v102
	;; [unrolled: 1-line block ×4, first 2 shown]
; %bb.11:
	s_or_saveexec_b64 s[2:3], s[0:1]
	v_lshlrev_b64 v[98:99], 4, v[1:2]
                                        ; implicit-def: $vgpr84_vgpr85
                                        ; implicit-def: $vgpr56_vgpr57
                                        ; implicit-def: $vgpr64_vgpr65
                                        ; implicit-def: $vgpr72_vgpr73
                                        ; implicit-def: $vgpr60_vgpr61
                                        ; implicit-def: $vgpr68_vgpr69
                                        ; implicit-def: $vgpr40_vgpr41
                                        ; implicit-def: $vgpr24_vgpr25
                                        ; implicit-def: $vgpr16_vgpr17
                                        ; implicit-def: $vgpr8_vgpr9
                                        ; implicit-def: $vgpr28_vgpr29
                                        ; implicit-def: $vgpr20_vgpr21
                                        ; implicit-def: $vgpr96_vgpr97
                                        ; implicit-def: $vgpr92_vgpr93
                                        ; implicit-def: $vgpr88_vgpr89
                                        ; implicit-def: $vgpr32_vgpr33
                                        ; implicit-def: $vgpr76_vgpr77
                                        ; implicit-def: $vgpr80_vgpr81
	s_xor_b64 exec, exec, s[2:3]
	s_cbranch_execz .LBB0_15
; %bb.12:
	v_mad_u64_u32 v[2:3], s[0:1], s12, v102, 0
	v_add_u32_e32 v7, 0x120, v102
	v_mad_u64_u32 v[4:5], s[0:1], s12, v7, 0
	v_mov_b32_e32 v0, v3
	v_mad_u64_u32 v[0:1], s[0:1], s13, v102, v[0:1]
	v_mov_b32_e32 v6, s15
	v_or_b32_e32 v8, 0x240, v102
	v_mov_b32_e32 v3, v0
	v_add_co_u32_e64 v0, s[0:1], s14, v98
	v_addc_co_u32_e64 v1, s[0:1], v6, v99, s[0:1]
	v_mad_u64_u32 v[5:6], s[0:1], s13, v7, v[5:6]
	v_mad_u64_u32 v[6:7], s[0:1], s12, v8, 0
	v_lshlrev_b64 v[2:3], 4, v[2:3]
	v_lshlrev_b64 v[4:5], 4, v[4:5]
	v_add_co_u32_e64 v2, s[0:1], v0, v2
	v_addc_co_u32_e64 v3, s[0:1], v1, v3, s[0:1]
	v_mad_u64_u32 v[7:8], s[0:1], s13, v8, v[7:8]
	v_mad_u64_u32 v[8:9], s[0:1], s12, v103, 0
	v_add_co_u32_e64 v4, s[0:1], v0, v4
	v_addc_co_u32_e64 v5, s[0:1], v1, v5, s[0:1]
	v_mad_u64_u32 v[9:10], s[0:1], s13, v103, v[9:10]
	v_add_u32_e32 v14, 0x156, v102
	v_mad_u64_u32 v[10:11], s[0:1], s12, v14, 0
	v_lshlrev_b64 v[6:7], 4, v[6:7]
	v_add_u32_e32 v104, 0x6c, v102
	v_add_co_u32_e64 v12, s[0:1], v0, v6
	v_addc_co_u32_e64 v13, s[0:1], v1, v7, s[0:1]
	v_lshlrev_b64 v[6:7], 4, v[8:9]
	v_mov_b32_e32 v8, v11
	v_mad_u64_u32 v[8:9], s[0:1], s13, v14, v[8:9]
	v_add_u32_e32 v9, 0x276, v102
	v_mad_u64_u32 v[14:15], s[0:1], s12, v9, 0
	v_add_co_u32_e64 v34, s[0:1], v0, v6
	v_mov_b32_e32 v11, v8
	v_mov_b32_e32 v8, v15
	v_addc_co_u32_e64 v35, s[0:1], v1, v7, s[0:1]
	v_mad_u64_u32 v[8:9], s[0:1], s13, v9, v[8:9]
	v_lshlrev_b64 v[6:7], 4, v[10:11]
	v_mad_u64_u32 v[9:10], s[0:1], s12, v104, 0
	v_add_co_u32_e64 v36, s[0:1], v0, v6
	v_mov_b32_e32 v15, v8
	v_mov_b32_e32 v8, v10
	v_addc_co_u32_e64 v37, s[0:1], v1, v7, s[0:1]
	v_mad_u64_u32 v[10:11], s[0:1], s13, v104, v[8:9]
	v_add_u32_e32 v11, 0x18c, v102
	v_lshlrev_b64 v[6:7], 4, v[14:15]
	v_mad_u64_u32 v[14:15], s[0:1], s12, v11, 0
	v_add_co_u32_e64 v42, s[0:1], v0, v6
	v_mov_b32_e32 v8, v15
	v_addc_co_u32_e64 v43, s[0:1], v1, v7, s[0:1]
	v_lshlrev_b64 v[6:7], 4, v[9:10]
	v_mad_u64_u32 v[8:9], s[0:1], s13, v11, v[8:9]
	v_add_u32_e32 v11, 0x2ac, v102
	v_mad_u64_u32 v[9:10], s[0:1], s12, v11, 0
	v_add_co_u32_e64 v44, s[0:1], v0, v6
	v_mov_b32_e32 v15, v8
	v_add_u32_e32 v105, 0xa2, v102
	v_addc_co_u32_e64 v45, s[0:1], v1, v7, s[0:1]
	v_lshlrev_b64 v[6:7], 4, v[14:15]
	v_mov_b32_e32 v8, v10
	v_mad_u64_u32 v[14:15], s[0:1], s12, v105, 0
	v_mad_u64_u32 v[10:11], s[0:1], s13, v11, v[8:9]
	v_add_co_u32_e64 v46, s[0:1], v0, v6
	v_mov_b32_e32 v8, v15
	v_addc_co_u32_e64 v47, s[0:1], v1, v7, s[0:1]
	v_lshlrev_b64 v[6:7], 4, v[9:10]
	v_mad_u64_u32 v[8:9], s[0:1], s13, v105, v[8:9]
	v_add_u32_e32 v11, 0x1c2, v102
	v_mad_u64_u32 v[9:10], s[0:1], s12, v11, 0
	v_add_co_u32_e64 v48, s[0:1], v0, v6
	v_mov_b32_e32 v15, v8
	v_mov_b32_e32 v8, v10
	v_addc_co_u32_e64 v49, s[0:1], v1, v7, s[0:1]
	v_mad_u64_u32 v[10:11], s[0:1], s13, v11, v[8:9]
	v_add_u32_e32 v11, 0x2e2, v102
	v_lshlrev_b64 v[6:7], 4, v[14:15]
	v_mad_u64_u32 v[14:15], s[0:1], s12, v11, 0
	v_add_co_u32_e64 v50, s[0:1], v0, v6
	v_mov_b32_e32 v8, v15
	v_addc_co_u32_e64 v51, s[0:1], v1, v7, s[0:1]
	v_lshlrev_b64 v[6:7], 4, v[9:10]
	v_mad_u64_u32 v[8:9], s[0:1], s13, v11, v[8:9]
	v_add_u32_e32 v107, 0xd8, v102
	v_mad_u64_u32 v[9:10], s[0:1], s12, v107, 0
	v_add_co_u32_e64 v52, s[0:1], v0, v6
	v_mov_b32_e32 v15, v8
	v_mov_b32_e32 v8, v10
	v_addc_co_u32_e64 v53, s[0:1], v1, v7, s[0:1]
	v_mad_u64_u32 v[10:11], s[0:1], s13, v107, v[8:9]
	v_add_u32_e32 v11, 0x1f8, v102
	v_lshlrev_b64 v[6:7], 4, v[14:15]
	v_mad_u64_u32 v[14:15], s[0:1], s12, v11, 0
	v_add_co_u32_e64 v86, s[0:1], v0, v6
	v_mov_b32_e32 v8, v15
	v_addc_co_u32_e64 v87, s[0:1], v1, v7, s[0:1]
	v_lshlrev_b64 v[6:7], 4, v[9:10]
	v_mad_u64_u32 v[8:9], s[0:1], s13, v11, v[8:9]
	v_add_u32_e32 v11, 0x318, v102
	v_mad_u64_u32 v[9:10], s[0:1], s12, v11, 0
	v_add_co_u32_e64 v88, s[0:1], v0, v6
	v_mov_b32_e32 v15, v8
	v_mov_b32_e32 v8, v10
	v_addc_co_u32_e64 v89, s[0:1], v1, v7, s[0:1]
	v_mad_u64_u32 v[10:11], s[0:1], s13, v11, v[8:9]
	v_lshlrev_b64 v[6:7], 4, v[14:15]
                                        ; implicit-def: $vgpr94_vgpr95
	v_add_co_u32_e64 v90, s[0:1], v0, v6
	v_addc_co_u32_e64 v91, s[0:1], v1, v7, s[0:1]
	v_lshlrev_b64 v[6:7], 4, v[9:10]
	v_add_co_u32_e64 v10, s[0:1], v0, v6
	v_addc_co_u32_e64 v11, s[0:1], v1, v7, s[0:1]
	global_load_dwordx4 v[78:81], v[2:3], off
	global_load_dwordx4 v[82:85], v[4:5], off
	;; [unrolled: 1-line block ×15, first 2 shown]
	v_cmp_gt_u32_e64 s[0:1], 18, v102
                                        ; implicit-def: $vgpr86_vgpr87
                                        ; implicit-def: $vgpr90_vgpr91
	s_and_saveexec_b64 s[4:5], s[0:1]
	s_cbranch_execz .LBB0_14
; %bb.13:
	v_add_u32_e32 v10, 0x10e, v102
	v_add_u32_e32 v12, 0x22e, v102
	v_mad_u64_u32 v[2:3], s[0:1], s12, v10, 0
	v_mad_u64_u32 v[4:5], s[0:1], s12, v12, 0
	v_add_u32_e32 v13, 0x34e, v102
	v_mad_u64_u32 v[10:11], s[0:1], s13, v10, v[3:4]
	v_mov_b32_e32 v3, v10
	s_waitcnt vmcnt(2)
	v_mad_u64_u32 v[10:11], s[0:1], s13, v12, v[5:6]
	v_mad_u64_u32 v[11:12], s[0:1], s12, v13, 0
	v_lshlrev_b64 v[2:3], 4, v[2:3]
	v_mov_b32_e32 v5, v10
	v_add_co_u32_e64 v2, s[0:1], v0, v2
	v_mov_b32_e32 v10, v12
	v_addc_co_u32_e64 v3, s[0:1], v1, v3, s[0:1]
	v_mad_u64_u32 v[12:13], s[0:1], s13, v13, v[10:11]
	v_lshlrev_b64 v[4:5], 4, v[4:5]
	v_add_co_u32_e64 v4, s[0:1], v0, v4
	v_addc_co_u32_e64 v5, s[0:1], v1, v5, s[0:1]
	global_load_dwordx4 v[86:89], v[2:3], off
	global_load_dwordx4 v[90:93], v[4:5], off
	v_lshlrev_b64 v[2:3], 4, v[11:12]
	v_add_co_u32_e64 v0, s[0:1], v0, v2
	v_addc_co_u32_e64 v1, s[0:1], v1, v3, s[0:1]
	global_load_dwordx4 v[94:97], v[0:1], off
.LBB0_14:
	s_or_b64 exec, exec, s[4:5]
	v_mov_b32_e32 v108, v103
.LBB0_15:
	s_or_b64 exec, exec, s[2:3]
	s_waitcnt vmcnt(12)
	v_add_f64 v[0:1], v[82:83], v[54:55]
	s_waitcnt vmcnt(9)
	v_add_f64 v[10:11], v[70:71], v[58:59]
	v_add_f64 v[2:3], v[82:83], v[78:79]
	v_add_f64 v[4:5], v[84:85], -v[56:57]
	s_waitcnt vmcnt(6)
	v_add_f64 v[34:35], v[66:67], v[38:39]
	s_mov_b32 s0, 0xe8584caa
	s_mov_b32 s1, 0x3febb67a
	;; [unrolled: 1-line block ×3, first 2 shown]
	v_fma_f64 v[0:1], v[0:1], -0.5, v[78:79]
	v_add_f64 v[12:13], v[62:63], v[70:71]
	v_add_f64 v[36:37], v[72:73], -v[60:61]
	v_fma_f64 v[10:11], v[10:11], -0.5, v[62:63]
	s_mov_b32 s2, s0
	v_add_f64 v[42:43], v[66:67], v[74:75]
	v_add_f64 v[44:45], v[68:69], -v[40:41]
	v_add_f64 v[2:3], v[54:55], v[2:3]
	v_fma_f64 v[46:47], v[4:5], s[0:1], v[0:1]
	v_fma_f64 v[34:35], v[34:35], -0.5, v[74:75]
	v_fma_f64 v[0:1], v[4:5], s[2:3], v[0:1]
	v_mad_u32_u24 v112, v102, 24, 0
	v_add_f64 v[4:5], v[12:13], v[58:59]
	v_fma_f64 v[12:13], v[36:37], s[0:1], v[10:11]
	v_add_f64 v[42:43], v[38:39], v[42:43]
	v_fma_f64 v[10:11], v[36:37], s[2:3], v[10:11]
	ds_write2_b64 v112, v[2:3], v[46:47] offset1:1
	v_fma_f64 v[2:3], v[44:45], s[0:1], v[34:35]
	ds_write_b64 v112, v[0:1] offset:16
	v_fma_f64 v[0:1], v[44:45], s[2:3], v[34:35]
	v_mad_i32_i24 v110, v108, 24, 0
	ds_write2_b64 v110, v[4:5], v[12:13] offset1:1
	s_waitcnt vmcnt(3)
	v_add_f64 v[4:5], v[22:23], v[14:15]
	v_mad_i32_i24 v111, v104, 24, 0
	ds_write_b64 v110, v[10:11] offset:16
	ds_write2_b64 v111, v[42:43], v[2:3] offset1:1
	s_waitcnt vmcnt(0)
	v_add_f64 v[2:3], v[26:27], v[18:19]
	ds_write_b64 v111, v[0:1] offset:16
	v_add_f64 v[0:1], v[94:95], v[90:91]
	v_add_f64 v[10:11], v[22:23], v[30:31]
	v_fma_f64 v[4:5], v[4:5], -0.5, v[30:31]
	v_add_f64 v[12:13], v[24:25], -v[16:17]
	v_add_f64 v[30:31], v[90:91], v[86:87]
	v_add_f64 v[34:35], v[6:7], v[26:27]
	v_fma_f64 v[2:3], v[2:3], -0.5, v[6:7]
	v_add_f64 v[6:7], v[28:29], -v[20:21]
	v_fma_f64 v[0:1], v[0:1], -0.5, v[86:87]
	v_add_f64 v[36:37], v[92:93], -v[96:97]
	v_add_f64 v[10:11], v[14:15], v[10:11]
	v_fma_f64 v[42:43], v[12:13], s[0:1], v[4:5]
	v_fma_f64 v[44:45], v[12:13], s[2:3], v[4:5]
	v_add_f64 v[4:5], v[94:95], v[30:31]
	v_add_f64 v[62:63], v[34:35], v[18:19]
	v_fma_f64 v[86:87], v[6:7], s[0:1], v[2:3]
	v_fma_f64 v[12:13], v[6:7], s[2:3], v[2:3]
	;; [unrolled: 1-line block ×4, first 2 shown]
	v_mad_i32_i24 v0, v105, 24, 0
	ds_write2_b64 v0, v[10:11], v[42:43] offset1:1
	ds_write_b64 v0, v[44:45] offset:16
	v_mad_i32_i24 v0, v107, 24, 0
	v_cmp_gt_u32_e64 s[0:1], 18, v102
	ds_write2_b64 v0, v[62:63], v[86:87] offset1:1
	ds_write_b64 v0, v[12:13] offset:16
	s_and_saveexec_b64 s[2:3], s[0:1]
	s_cbranch_execz .LBB0_17
; %bb.16:
	v_add_u32_e32 v0, 0x1950, v112
	ds_write2_b64 v0, v[4:5], v[6:7] offset1:1
	ds_write_b64 v112, v[78:79] offset:6496
.LBB0_17:
	s_or_b64 exec, exec, s[2:3]
	v_lshlrev_b32_e32 v0, 4, v102
	v_sub_u32_e32 v109, v112, v0
	v_add_u32_e32 v10, 0x400, v109
	s_waitcnt lgkmcnt(0)
	; wave barrier
	s_waitcnt lgkmcnt(0)
	ds_read2_b64 v[50:53], v10 offset0:70 offset1:160
	v_add_u32_e32 v10, 0x800, v109
	ds_read2_b64 v[46:49], v10 offset0:86 offset1:176
	v_add_u32_e32 v10, 0xc00, v109
	v_lshlrev_b32_e32 v106, 4, v108
	ds_read2_b64 v[42:45], v10 offset0:102 offset1:192
	v_add_u32_e32 v114, 0x1000, v109
	v_sub_u32_e32 v10, v110, v106
	ds_read2_b64 v[0:3], v109 offset1:144
	ds_read2_b64 v[34:37], v114 offset0:118 offset1:208
	ds_read_b64 v[74:75], v10
	ds_read_b64 v[100:101], v109 offset:6192
	v_mul_i32_i24_e32 v31, 24, v105
	v_mul_i32_i24_e32 v30, 24, v107
	v_cmp_gt_u32_e64 s[2:3], 36, v102
	v_lshlrev_b32_e32 v113, 4, v104
	s_and_saveexec_b64 s[4:5], s[2:3]
	s_cbranch_execz .LBB0_19
; %bb.18:
	v_sub_u32_e32 v62, v111, v113
	v_add_u32_e32 v4, 0x600, v109
	ds_read2_b64 v[10:13], v4 offset0:60 offset1:204
	ds_read2_b64 v[4:7], v114 offset0:28 offset1:172
	ds_read_b64 v[62:63], v62
	ds_read_b64 v[78:79], v109 offset:6624
	s_waitcnt lgkmcnt(3)
	v_mov_b32_e32 v87, v11
	v_mov_b32_e32 v86, v10
.LBB0_19:
	s_or_b64 exec, exec, s[4:5]
	v_add_f64 v[10:11], v[84:85], v[56:57]
	v_add_f64 v[54:55], v[82:83], -v[54:55]
	v_add_f64 v[82:83], v[72:73], v[60:61]
	v_add_f64 v[72:73], v[64:65], v[72:73]
	v_add_f64 v[58:59], v[70:71], -v[58:59]
	s_mov_b32 s4, 0xe8584caa
	s_mov_b32 s5, 0xbfebb67a
	;; [unrolled: 1-line block ×3, first 2 shown]
	v_fma_f64 v[10:11], v[10:11], -0.5, v[80:81]
	s_mov_b32 s6, s4
	v_fma_f64 v[64:65], v[82:83], -0.5, v[64:65]
	v_add_f64 v[84:85], v[84:85], v[80:81]
	v_add_f64 v[80:81], v[68:69], v[40:41]
	v_add_f64 v[38:39], v[66:67], -v[38:39]
	v_add_f64 v[60:61], v[72:73], v[60:61]
	v_add_f64 v[72:73], v[96:97], v[92:93]
	v_fma_f64 v[70:71], v[54:55], s[4:5], v[10:11]
	v_fma_f64 v[10:11], v[54:55], s[6:7], v[10:11]
	v_add_f64 v[54:55], v[24:25], v[16:17]
	v_fma_f64 v[66:67], v[58:59], s[4:5], v[64:65]
	v_fma_f64 v[64:65], v[58:59], s[6:7], v[64:65]
	v_add_f64 v[58:59], v[28:29], v[20:21]
	v_add_f64 v[68:69], v[68:69], v[76:77]
	v_fma_f64 v[76:77], v[80:81], -0.5, v[76:77]
	v_add_f64 v[24:25], v[24:25], v[32:33]
	v_add_f64 v[14:15], v[22:23], -v[14:15]
	v_fma_f64 v[32:33], v[54:55], -0.5, v[32:33]
	v_add_f64 v[22:23], v[8:9], v[28:29]
	v_add_f64 v[26:27], v[26:27], -v[18:19]
	v_fma_f64 v[8:9], v[58:59], -0.5, v[8:9]
	v_add_f64 v[28:29], v[92:93], v[88:89]
	v_fma_f64 v[58:59], v[72:73], -0.5, v[88:89]
	v_add_f64 v[72:73], v[90:91], -v[94:95]
	v_add_f64 v[56:57], v[56:57], v[84:85]
	v_add_f64 v[40:41], v[40:41], v[68:69]
	v_fma_f64 v[68:69], v[38:39], s[4:5], v[76:77]
	v_fma_f64 v[38:39], v[38:39], s[6:7], v[76:77]
	v_add_f64 v[24:25], v[16:17], v[24:25]
	v_fma_f64 v[76:77], v[14:15], s[4:5], v[32:33]
	v_fma_f64 v[32:33], v[14:15], s[6:7], v[32:33]
	;; [unrolled: 3-line block ×4, first 2 shown]
	v_add_u32_e32 v8, 0, v31
	v_sub_u32_e32 v114, 0, v106
	v_add_u32_e32 v106, 0x10e, v102
	s_waitcnt lgkmcnt(0)
	; wave barrier
	s_waitcnt lgkmcnt(0)
	ds_write2_b64 v112, v[56:57], v[70:71] offset1:1
	ds_write_b64 v112, v[10:11] offset:16
	ds_write2_b64 v110, v[60:61], v[66:67] offset1:1
	ds_write_b64 v110, v[64:65] offset:16
	;; [unrolled: 2-line block ×4, first 2 shown]
	v_add_u32_e32 v8, 0, v30
	ds_write2_b64 v8, v[54:55], v[18:19] offset1:1
	ds_write_b64 v8, v[20:21] offset:16
	s_and_saveexec_b64 s[4:5], s[0:1]
	s_cbranch_execz .LBB0_21
; %bb.20:
	v_mad_u32_u24 v8, v106, 24, 0
	ds_write2_b64 v8, v[14:15], v[16:17] offset1:1
	ds_write_b64 v8, v[58:59] offset:16
.LBB0_21:
	s_or_b64 exec, exec, s[4:5]
	v_add_u32_e32 v22, 0x400, v109
	s_waitcnt lgkmcnt(0)
	; wave barrier
	s_waitcnt lgkmcnt(0)
	ds_read2_b64 v[38:41], v22 offset0:70 offset1:160
	v_add_u32_e32 v22, 0x800, v109
	ds_read2_b64 v[30:33], v22 offset0:86 offset1:176
	v_add_u32_e32 v22, 0xc00, v109
	v_add_u32_e32 v64, 0x1000, v109
	;; [unrolled: 1-line block ×3, first 2 shown]
	ds_read2_b64 v[8:11], v109 offset1:144
	ds_read2_b64 v[26:29], v22 offset0:102 offset1:192
	ds_read2_b64 v[22:25], v64 offset0:118 offset1:208
	ds_read_b64 v[56:57], v110
	ds_read_b64 v[60:61], v109 offset:6192
	s_and_saveexec_b64 s[4:5], s[2:3]
	s_cbranch_execz .LBB0_23
; %bb.22:
	v_sub_u32_e32 v54, v111, v113
	v_add_u32_e32 v14, 0x600, v109
	ds_read2_b64 v[18:21], v14 offset0:60 offset1:204
	ds_read2_b64 v[14:17], v64 offset0:28 offset1:172
	ds_read_b64 v[54:55], v54
	ds_read_b64 v[58:59], v109 offset:6624
.LBB0_23:
	s_or_b64 exec, exec, s[4:5]
	s_movk_i32 s4, 0xab
	v_mul_lo_u16_sdwa v64, v102, s4 dst_sel:DWORD dst_unused:UNUSED_PAD src0_sel:BYTE_0 src1_sel:DWORD
	v_mul_lo_u16_sdwa v70, v108, s4 dst_sel:DWORD dst_unused:UNUSED_PAD src0_sel:BYTE_0 src1_sel:DWORD
	v_lshrrev_b16_e32 v84, 9, v64
	v_lshrrev_b16_e32 v177, 9, v70
	v_mul_lo_u16_e32 v64, 3, v84
	v_mul_lo_u16_e32 v70, 3, v177
	v_sub_u16_e32 v85, v102, v64
	v_mov_b32_e32 v64, 5
	v_sub_u16_e32 v178, v108, v70
	v_mul_u32_u24_sdwa v65, v85, v64 dst_sel:DWORD dst_unused:UNUSED_PAD src0_sel:BYTE_0 src1_sel:DWORD
	v_mul_u32_u24_sdwa v70, v178, v64 dst_sel:DWORD dst_unused:UNUSED_PAD src0_sel:BYTE_0 src1_sel:DWORD
	v_lshlrev_b32_e32 v65, 4, v65
	v_lshlrev_b32_e32 v76, 4, v70
	global_load_dwordx4 v[66:69], v65, s[8:9] offset:16
	global_load_dwordx4 v[70:73], v76, s[8:9]
	global_load_dwordx4 v[80:83], v65, s[8:9] offset:32
	global_load_dwordx4 v[88:91], v76, s[8:9] offset:16
	;; [unrolled: 1-line block ×5, first 2 shown]
	v_mul_lo_u16_sdwa v77, v104, s4 dst_sel:DWORD dst_unused:UNUSED_PAD src0_sel:BYTE_0 src1_sel:DWORD
	v_lshrrev_b16_e32 v92, 9, v77
	v_mul_lo_u16_e32 v77, 3, v92
	v_sub_u16_e32 v93, v104, v77
	v_mul_u32_u24_sdwa v64, v93, v64 dst_sel:DWORD dst_unused:UNUSED_PAD src0_sel:BYTE_0 src1_sel:DWORD
	global_load_dwordx4 v[119:122], v76, s[8:9] offset:48
	global_load_dwordx4 v[123:126], v76, s[8:9] offset:64
	v_lshlrev_b32_e32 v64, 4, v64
	global_load_dwordx4 v[127:130], v64, s[8:9]
	global_load_dwordx4 v[131:134], v65, s[8:9]
	global_load_dwordx4 v[135:138], v64, s[8:9] offset:16
	global_load_dwordx4 v[139:142], v64, s[8:9] offset:32
	;; [unrolled: 1-line block ×4, first 2 shown]
	s_mov_b32 s6, 0xe8584caa
	s_mov_b32 s7, 0x3febb67a
	;; [unrolled: 1-line block ×4, first 2 shown]
	v_mul_u32_u24_e32 v84, 0x90, v84
	s_waitcnt lgkmcnt(0)
	; wave barrier
	s_waitcnt vmcnt(13) lgkmcnt(0)
	v_mul_f64 v[76:77], v[38:39], v[72:73]
	v_mul_f64 v[72:73], v[50:51], v[72:73]
	s_waitcnt vmcnt(12)
	v_mul_f64 v[151:152], v[32:33], v[82:83]
	v_mul_f64 v[82:83], v[48:49], v[82:83]
	v_mul_f64 v[64:65], v[40:41], v[68:69]
	v_mul_f64 v[68:69], v[52:53], v[68:69]
	s_waitcnt vmcnt(10)
	v_mul_f64 v[155:156], v[28:29], v[96:97]
	s_waitcnt vmcnt(8)
	v_mul_f64 v[159:160], v[24:25], v[117:118]
	v_mul_f64 v[117:118], v[36:37], v[117:118]
	;; [unrolled: 1-line block ×5, first 2 shown]
	s_waitcnt vmcnt(7)
	v_mul_f64 v[161:162], v[22:23], v[121:122]
	v_mul_f64 v[121:122], v[34:35], v[121:122]
	s_waitcnt vmcnt(5)
	v_mul_f64 v[165:166], v[18:19], v[129:130]
	v_mul_f64 v[129:130], v[86:87], v[129:130]
	;; [unrolled: 3-line block ×5, first 2 shown]
	v_fma_f64 v[64:65], v[52:53], v[66:67], -v[64:65]
	v_fma_f64 v[68:69], v[40:41], v[66:67], v[68:69]
	v_fma_f64 v[76:77], v[50:51], v[70:71], -v[76:77]
	v_fma_f64 v[38:39], v[38:39], v[70:71], v[72:73]
	;; [unrolled: 2-line block ×3, first 2 shown]
	v_fma_f64 v[70:71], v[44:45], v[94:95], -v[155:156]
	v_fma_f64 v[44:45], v[36:37], v[115:116], -v[159:160]
	v_fma_f64 v[36:37], v[24:25], v[115:116], v[117:118]
	v_mul_f64 v[163:164], v[60:61], v[125:126]
	v_mul_f64 v[125:126], v[100:101], v[125:126]
	v_fma_f64 v[48:49], v[28:29], v[94:95], v[96:97]
	v_fma_f64 v[40:41], v[26:27], v[111:112], v[113:114]
	v_fma_f64 v[52:53], v[34:35], v[119:120], -v[161:162]
	v_fma_f64 v[34:35], v[22:23], v[119:120], v[121:122]
	v_fma_f64 v[22:23], v[18:19], v[127:128], v[129:130]
	v_fma_f64 v[18:19], v[2:3], v[131:132], -v[167:168]
	v_fma_f64 v[10:11], v[10:11], v[131:132], v[133:134]
	v_fma_f64 v[26:27], v[14:15], v[139:140], v[141:142]
	v_fma_f64 v[28:29], v[16:17], v[143:144], v[145:146]
	v_add_f64 v[14:15], v[66:67], v[36:37]
	v_add_f64 v[16:17], v[72:73], v[44:45]
	v_mul_f64 v[153:154], v[30:31], v[90:91]
	v_mul_f64 v[90:91], v[46:47], v[90:91]
	;; [unrolled: 1-line block ×3, first 2 shown]
	s_waitcnt vmcnt(0)
	v_mul_f64 v[175:176], v[58:59], v[149:150]
	v_mul_f64 v[149:150], v[78:79], v[149:150]
	v_fma_f64 v[32:33], v[60:61], v[123:124], v[125:126]
	v_fma_f64 v[60:61], v[86:87], v[127:128], -v[165:166]
	v_add_f64 v[86:87], v[18:19], v[72:73]
	v_add_f64 v[80:81], v[66:67], -v[36:37]
	v_add_f64 v[72:73], v[72:73], -v[44:45]
	v_fma_f64 v[94:95], v[14:15], -0.5, v[10:11]
	v_fma_f64 v[18:19], v[16:17], -0.5, v[18:19]
	v_mul_f64 v[137:138], v[12:13], v[137:138]
	v_fma_f64 v[46:47], v[46:47], v[88:89], -v[153:154]
	v_fma_f64 v[50:51], v[30:31], v[88:89], v[90:91]
	v_fma_f64 v[42:43], v[42:43], v[111:112], -v[157:158]
	v_fma_f64 v[88:89], v[100:101], v[123:124], -v[163:164]
	;; [unrolled: 1-line block ×6, first 2 shown]
	v_fma_f64 v[30:31], v[58:59], v[147:148], v[149:150]
	v_add_f64 v[58:59], v[64:65], v[70:71]
	v_fma_f64 v[16:17], v[72:73], s[4:5], v[94:95]
	v_fma_f64 v[14:15], v[80:81], s[4:5], v[18:19]
	;; [unrolled: 1-line block ×3, first 2 shown]
	v_add_f64 v[20:21], v[0:1], v[64:65]
	v_add_f64 v[78:79], v[68:69], -v[48:49]
	v_add_f64 v[90:91], v[74:75], v[46:47]
	v_add_f64 v[96:97], v[46:47], v[52:53]
	;; [unrolled: 1-line block ×6, first 2 shown]
	v_fma_f64 v[0:1], v[58:59], -0.5, v[0:1]
	v_fma_f64 v[82:83], v[80:81], s[6:7], v[18:19]
	v_fma_f64 v[80:81], v[72:73], s[6:7], v[94:95]
	v_mul_f64 v[18:19], v[16:17], s[6:7]
	v_mul_f64 v[58:59], v[14:15], -0.5
	v_add_f64 v[113:114], v[40:41], -v[32:33]
	v_add_f64 v[117:118], v[42:43], -v[88:89]
	;; [unrolled: 1-line block ×3, first 2 shown]
	v_add_f64 v[20:21], v[20:21], v[70:71]
	v_add_f64 v[44:45], v[86:87], v[44:45]
	v_add_f64 v[125:126], v[90:91], v[52:53]
	v_fma_f64 v[86:87], v[96:97], -0.5, v[74:75]
	v_fma_f64 v[72:73], v[78:79], s[6:7], v[0:1]
	v_fma_f64 v[0:1], v[78:79], s[4:5], v[0:1]
	v_fma_f64 v[18:19], v[82:83], 0.5, v[18:19]
	v_fma_f64 v[58:59], v[80:81], s[6:7], v[58:59]
	v_fma_f64 v[74:75], v[111:112], -0.5, v[76:77]
	v_fma_f64 v[78:79], v[115:116], -0.5, v[38:39]
	;; [unrolled: 1-line block ×4, first 2 shown]
	v_add_f64 v[96:97], v[26:27], -v[30:31]
	v_add_f64 v[111:112], v[20:21], v[44:45]
	v_add_f64 v[44:45], v[20:21], -v[44:45]
	v_add_f64 v[115:116], v[72:73], v[18:19]
	v_add_f64 v[119:120], v[0:1], v[58:59]
	v_add_f64 v[121:122], v[72:73], -v[18:19]
	v_add_f64 v[127:128], v[0:1], -v[58:59]
	v_fma_f64 v[18:19], v[117:118], s[4:5], v[78:79]
	v_fma_f64 v[0:1], v[113:114], s[4:5], v[74:75]
	v_add_f64 v[129:130], v[2:3], v[4:5]
	v_fma_f64 v[58:59], v[123:124], s[4:5], v[94:95]
	v_fma_f64 v[20:21], v[96:97], s[4:5], v[90:91]
	v_add_f64 v[42:43], v[76:77], v[42:43]
	v_fma_f64 v[76:77], v[96:97], s[6:7], v[90:91]
	v_mov_b32_e32 v96, 3
	v_lshlrev_b32_sdwa v85, v96, v85 dst_sel:DWORD dst_unused:UNUSED_PAD src0_sel:DWORD src1_sel:BYTE_0
	v_fma_f64 v[72:73], v[113:114], s[6:7], v[74:75]
	v_fma_f64 v[74:75], v[117:118], s[6:7], v[78:79]
	;; [unrolled: 1-line block ×3, first 2 shown]
	v_add3_u32 v94, 0, v84, v85
	v_add_f64 v[100:101], v[50:51], -v[34:35]
	v_mul_f64 v[113:114], v[18:19], s[6:7]
	v_mul_f64 v[90:91], v[0:1], -0.5
	v_fma_f64 v[117:118], v[129:130], -0.5, v[62:63]
	v_add_f64 v[123:124], v[24:25], -v[28:29]
	ds_write2_b64 v94, v[111:112], v[115:116] offset1:3
	v_mul_f64 v[111:112], v[58:59], s[6:7]
	v_mul_f64 v[115:116], v[20:21], -0.5
	v_add_f64 v[42:43], v[42:43], v[88:89]
	v_fma_f64 v[129:130], v[100:101], s[6:7], v[86:87]
	v_fma_f64 v[113:114], v[72:73], 0.5, v[113:114]
	v_fma_f64 v[100:101], v[100:101], s[4:5], v[86:87]
	v_fma_f64 v[131:132], v[74:75], s[6:7], v[90:91]
	;; [unrolled: 1-line block ×4, first 2 shown]
	v_fma_f64 v[88:89], v[76:77], 0.5, v[111:112]
	v_fma_f64 v[90:91], v[78:79], s[6:7], v[115:116]
	v_add_f64 v[111:112], v[125:126], v[42:43]
	v_add_f64 v[115:116], v[125:126], -v[42:43]
	v_add_f64 v[117:118], v[129:130], v[113:114]
	ds_write2_b64 v94, v[119:120], v[44:45] offset0:6 offset1:9
	v_add_f64 v[123:124], v[100:101], v[131:132]
	v_add_f64 v[113:114], v[129:130], -v[113:114]
	v_add_f64 v[42:43], v[84:85], -v[88:89]
	;; [unrolled: 1-line block ×4, first 2 shown]
	v_mul_u32_u24_e32 v95, 0x90, v177
	v_lshlrev_b32_sdwa v97, v96, v178 dst_sel:DWORD dst_unused:UNUSED_PAD src0_sel:DWORD src1_sel:BYTE_0
	v_add3_u32 v95, 0, v95, v97
	ds_write2_b64 v94, v[121:122], v[127:128] offset0:12 offset1:15
	ds_write2_b64 v95, v[111:112], v[117:118] offset1:3
	ds_write2_b64 v95, v[123:124], v[115:116] offset0:6 offset1:9
	ds_write2_b64 v95, v[113:114], v[100:101] offset0:12 offset1:15
	s_and_saveexec_b64 s[10:11], s[2:3]
	s_cbranch_execz .LBB0_25
; %bb.24:
	v_add_f64 v[62:63], v[62:63], v[2:3]
	v_add_f64 v[12:13], v[60:61], v[12:13]
	v_add_f64 v[60:61], v[62:63], v[4:5]
	v_add_f64 v[6:7], v[12:13], v[6:7]
	v_add_f64 v[62:63], v[84:85], v[88:89]
	v_add_f64 v[12:13], v[86:87], v[90:91]
	v_add_f64 v[84:85], v[60:61], v[6:7]
	v_add_f64 v[6:7], v[60:61], -v[6:7]
	v_mul_u32_u24_e32 v60, 0x90, v92
	v_lshlrev_b32_sdwa v61, v96, v93 dst_sel:DWORD dst_unused:UNUSED_PAD src0_sel:DWORD src1_sel:BYTE_0
	v_add3_u32 v60, 0, v60, v61
	ds_write2_b64 v60, v[84:85], v[62:63] offset1:3
	ds_write2_b64 v60, v[12:13], v[6:7] offset0:6 offset1:9
	ds_write2_b64 v60, v[42:43], v[44:45] offset0:12 offset1:15
.LBB0_25:
	s_or_b64 exec, exec, s[10:11]
	v_add_f64 v[6:7], v[68:69], v[48:49]
	v_add_f64 v[12:13], v[8:9], v[68:69]
	;; [unrolled: 1-line block ×4, first 2 shown]
	v_add_f64 v[60:61], v[64:65], -v[70:71]
	v_mul_f64 v[62:63], v[82:83], s[4:5]
	v_mul_f64 v[64:65], v[80:81], -0.5
	v_add_f64 v[46:47], v[46:47], -v[52:53]
	v_fma_f64 v[6:7], v[6:7], -0.5, v[8:9]
	v_add_f64 v[8:9], v[56:57], v[50:51]
	v_add_f64 v[12:13], v[12:13], v[48:49]
	;; [unrolled: 1-line block ×3, first 2 shown]
	v_fma_f64 v[36:37], v[66:67], -0.5, v[56:57]
	v_add_f64 v[50:51], v[24:25], v[28:29]
	v_fma_f64 v[16:17], v[16:17], 0.5, v[62:63]
	v_fma_f64 v[14:15], v[14:15], s[4:5], v[64:65]
	v_fma_f64 v[48:49], v[60:61], s[4:5], v[6:7]
	v_add_f64 v[2:3], v[2:3], -v[4:5]
	v_add_f64 v[8:9], v[8:9], v[34:35]
	v_add_f64 v[63:64], v[12:13], v[10:11]
	v_add_f64 v[65:66], v[12:13], -v[10:11]
	v_fma_f64 v[10:11], v[46:47], s[4:5], v[36:37]
	v_add_f64 v[12:13], v[38:39], v[40:41]
	v_fma_f64 v[38:39], v[50:51], -0.5, v[54:55]
	v_fma_f64 v[4:5], v[46:47], s[6:7], v[36:37]
	v_mul_f64 v[36:37], v[76:77], s[4:5]
	v_mul_f64 v[40:41], v[78:79], -0.5
	v_add_f64 v[67:68], v[48:49], v[16:17]
	v_add_f64 v[80:81], v[48:49], -v[16:17]
	v_mul_f64 v[16:17], v[72:73], s[4:5]
	v_mul_f64 v[34:35], v[74:75], -0.5
	v_fma_f64 v[50:51], v[2:3], s[4:5], v[38:39]
	v_fma_f64 v[52:53], v[2:3], s[6:7], v[38:39]
	v_fma_f64 v[56:57], v[58:59], 0.5, v[36:37]
	v_fma_f64 v[58:59], v[20:21], s[4:5], v[40:41]
	v_fma_f64 v[6:7], v[60:61], s[6:7], v[6:7]
	v_add_f64 v[12:13], v[12:13], v[32:33]
	v_fma_f64 v[16:17], v[18:19], 0.5, v[16:17]
	v_fma_f64 v[0:1], v[0:1], s[4:5], v[34:35]
	s_waitcnt lgkmcnt(0)
	; wave barrier
	s_waitcnt lgkmcnt(0)
	v_add_f64 v[46:47], v[50:51], -v[56:57]
	v_add_f64 v[48:49], v[52:53], -v[58:59]
	v_add_f64 v[69:70], v[6:7], v[14:15]
	v_lshl_add_u32 v112, v104, 3, 0
	v_lshl_add_u32 v113, v105, 3, 0
	;; [unrolled: 1-line block ×3, first 2 shown]
	ds_read_b64 v[20:21], v109
	ds_read_b64 v[38:39], v112
	;; [unrolled: 1-line block ×4, first 2 shown]
	v_add_f64 v[71:72], v[6:7], -v[14:15]
	v_add_u32_e32 v60, 0x800, v109
	v_add_u32_e32 v62, 0x1000, v109
	;; [unrolled: 1-line block ×3, first 2 shown]
	v_add_f64 v[73:74], v[8:9], v[12:13]
	v_add_f64 v[75:76], v[10:11], v[16:17]
	;; [unrolled: 1-line block ×3, first 2 shown]
	v_add_f64 v[82:83], v[8:9], -v[12:13]
	v_add_f64 v[84:85], v[10:11], -v[16:17]
	v_add_f64 v[86:87], v[4:5], -v[0:1]
	v_lshl_add_u32 v111, v102, 3, 0
	ds_read_b64 v[40:41], v110
	ds_read_b64 v[36:37], v111 offset:2160
	ds_read2_b64 v[16:19], v60 offset0:68 offset1:122
	ds_read2_b64 v[8:11], v60 offset0:176 offset1:230
	;; [unrolled: 1-line block ×5, first 2 shown]
	s_waitcnt lgkmcnt(0)
	; wave barrier
	s_waitcnt lgkmcnt(0)
	ds_write2_b64 v94, v[63:64], v[67:68] offset1:3
	ds_write2_b64 v94, v[69:70], v[65:66] offset0:6 offset1:9
	ds_write2_b64 v94, v[80:81], v[71:72] offset0:12 offset1:15
	ds_write2_b64 v95, v[73:74], v[75:76] offset1:3
	ds_write2_b64 v95, v[77:78], v[82:83] offset0:6 offset1:9
	ds_write2_b64 v95, v[84:85], v[86:87] offset0:12 offset1:15
	s_and_saveexec_b64 s[4:5], s[2:3]
	s_cbranch_execz .LBB0_27
; %bb.26:
	v_add_f64 v[24:25], v[54:55], v[24:25]
	v_add_f64 v[22:23], v[22:23], v[26:27]
	;; [unrolled: 1-line block ×7, first 2 shown]
	v_add_f64 v[22:23], v[24:25], -v[22:23]
	v_mov_b32_e32 v25, 3
	v_mul_u32_u24_e32 v24, 0x90, v92
	v_lshlrev_b32_sdwa v25, v25, v93 dst_sel:DWORD dst_unused:UNUSED_PAD src0_sel:DWORD src1_sel:BYTE_0
	v_add3_u32 v24, 0, v24, v25
	ds_write2_b64 v24, v[30:31], v[26:27] offset1:3
	ds_write2_b64 v24, v[28:29], v[22:23] offset0:6 offset1:9
	ds_write2_b64 v24, v[46:47], v[48:49] offset0:12 offset1:15
.LBB0_27:
	s_or_b64 exec, exec, s[4:5]
	v_mov_b32_e32 v22, 57
	v_mul_lo_u16_sdwa v22, v102, v22 dst_sel:DWORD dst_unused:UNUSED_PAD src0_sel:BYTE_0 src1_sel:DWORD
	v_lshrrev_b16_e32 v181, 10, v22
	v_mul_lo_u16_e32 v22, 18, v181
	v_sub_u16_e32 v182, v102, v22
	v_mov_b32_e32 v22, 15
	v_mul_u32_u24_sdwa v22, v182, v22 dst_sel:DWORD dst_unused:UNUSED_PAD src0_sel:BYTE_0 src1_sel:DWORD
	v_lshlrev_b32_e32 v26, 4, v22
	s_waitcnt lgkmcnt(0)
	; wave barrier
	s_waitcnt lgkmcnt(0)
	global_load_dwordx4 v[50:53], v26, s[8:9] offset:240
	global_load_dwordx4 v[54:57], v26, s[8:9] offset:256
	;; [unrolled: 1-line block ×15, first 2 shown]
	ds_read_b64 v[30:31], v109
	ds_read_b64 v[58:59], v112
	ds_read_b64 v[95:96], v113
	ds_read_b64 v[100:101], v114
	ds_read_b64 v[147:148], v110
	ds_read_b64 v[149:150], v111 offset:2160
	ds_read2_b64 v[131:134], v60 offset0:68 offset1:122
	ds_read2_b64 v[26:29], v60 offset0:176 offset1:230
	;; [unrolled: 1-line block ×5, first 2 shown]
	s_mov_b32 s16, 0x667f3bcd
	s_mov_b32 s17, 0x3fe6a09e
	;; [unrolled: 1-line block ×12, first 2 shown]
	s_waitcnt lgkmcnt(0)
	; wave barrier
	s_waitcnt vmcnt(14) lgkmcnt(0)
	v_mul_f64 v[151:152], v[147:148], v[52:53]
	v_mul_f64 v[52:53], v[40:41], v[52:53]
	s_waitcnt vmcnt(13)
	v_mul_f64 v[153:154], v[58:59], v[56:57]
	v_mul_f64 v[56:57], v[38:39], v[56:57]
	s_waitcnt vmcnt(12)
	v_mul_f64 v[155:156], v[95:96], v[65:66]
	s_waitcnt vmcnt(11)
	;; [unrolled: 2-line block ×4, first 2 shown]
	v_mul_f64 v[165:166], v[26:27], v[24:25]
	v_mul_f64 v[65:66], v[34:35], v[65:66]
	s_waitcnt vmcnt(5)
	v_mul_f64 v[169:170], v[135:136], v[89:90]
	v_mul_f64 v[69:70], v[32:33], v[69:70]
	s_waitcnt vmcnt(3)
	;; [unrolled: 3-line block ×3, first 2 shown]
	v_mul_f64 v[177:178], v[143:144], v[125:126]
	v_mul_f64 v[73:74], v[36:37], v[73:74]
	;; [unrolled: 1-line block ×10, first 2 shown]
	v_fma_f64 v[40:41], v[40:41], v[50:51], -v[151:152]
	v_fma_f64 v[50:51], v[147:148], v[50:51], v[52:53]
	v_fma_f64 v[38:39], v[38:39], v[54:55], -v[153:154]
	v_fma_f64 v[52:53], v[58:59], v[54:55], v[56:57]
	v_fma_f64 v[54:55], v[34:35], v[63:64], -v[155:156]
	v_fma_f64 v[58:59], v[32:33], v[67:68], -v[157:158]
	v_fma_f64 v[16:17], v[16:17], v[75:76], -v[161:162]
	v_fma_f64 v[34:35], v[8:9], v[22:23], -v[165:166]
	v_fma_f64 v[12:13], v[12:13], v[87:88], -v[169:170]
	v_fma_f64 v[4:5], v[4:5], v[115:116], -v[173:174]
	v_fma_f64 v[0:1], v[0:1], v[123:124], -v[177:178]
	v_mul_f64 v[171:172], v[137:138], v[93:94]
	v_mul_f64 v[175:176], v[141:142], v[121:122]
	;; [unrolled: 1-line block ×3, first 2 shown]
	s_waitcnt vmcnt(0)
	v_mul_f64 v[179:180], v[145:146], v[129:130]
	v_mul_f64 v[129:130], v[2:3], v[129:130]
	v_fma_f64 v[56:57], v[95:96], v[63:64], v[65:66]
	v_fma_f64 v[32:33], v[100:101], v[67:68], v[69:70]
	v_fma_f64 v[63:64], v[36:37], v[71:72], -v[159:160]
	v_fma_f64 v[65:66], v[149:150], v[71:72], v[73:74]
	v_fma_f64 v[67:68], v[131:132], v[75:76], v[77:78]
	v_fma_f64 v[18:19], v[18:19], v[79:80], -v[163:164]
	v_fma_f64 v[69:70], v[133:134], v[79:80], v[81:82]
	v_fma_f64 v[10:11], v[10:11], v[83:84], -v[167:168]
	v_fma_f64 v[36:37], v[28:29], v[83:84], v[85:86]
	v_fma_f64 v[71:72], v[135:136], v[87:88], v[89:90]
	;; [unrolled: 1-line block ×4, first 2 shown]
	v_add_f64 v[83:84], v[20:21], -v[34:35]
	v_add_f64 v[28:29], v[58:59], -v[4:5]
	;; [unrolled: 1-line block ×4, first 2 shown]
	v_mul_f64 v[93:94], v[14:15], v[93:94]
	v_fma_f64 v[14:15], v[14:15], v[91:92], -v[171:172]
	v_fma_f64 v[6:7], v[6:7], v[119:120], -v[175:176]
	v_fma_f64 v[77:78], v[141:142], v[119:120], v[121:122]
	v_fma_f64 v[2:3], v[2:3], v[127:128], -v[179:180]
	v_fma_f64 v[81:82], v[145:146], v[127:128], v[129:130]
	v_add_f64 v[34:35], v[32:33], -v[75:76]
	v_add_f64 v[12:13], v[52:53], -v[71:72]
	v_add_f64 v[71:72], v[67:68], -v[79:80]
	v_add_f64 v[10:11], v[40:41], -v[10:11]
	v_fma_f64 v[20:21], v[20:21], 2.0, -v[83:84]
	v_fma_f64 v[58:59], v[58:59], 2.0, -v[28:29]
	;; [unrolled: 1-line block ×4, first 2 shown]
	v_fma_f64 v[73:74], v[137:138], v[91:92], v[93:94]
	v_add_f64 v[75:76], v[50:51], -v[36:37]
	v_add_f64 v[6:7], v[63:64], -v[6:7]
	;; [unrolled: 1-line block ×6, first 2 shown]
	v_fma_f64 v[36:37], v[52:53], 2.0, -v[12:13]
	v_fma_f64 v[52:53], v[67:68], 2.0, -v[71:72]
	;; [unrolled: 1-line block ×3, first 2 shown]
	v_add_f64 v[58:59], v[20:21], -v[58:59]
	v_add_f64 v[88:89], v[83:84], -v[34:35]
	;; [unrolled: 1-line block ×5, first 2 shown]
	v_fma_f64 v[50:51], v[50:51], 2.0, -v[75:76]
	v_fma_f64 v[63:64], v[63:64], 2.0, -v[6:7]
	;; [unrolled: 1-line block ×6, first 2 shown]
	v_add_f64 v[0:1], v[12:13], v[0:1]
	v_fma_f64 v[20:21], v[83:84], 2.0, -v[88:89]
	v_add_f64 v[92:93], v[10:11], -v[77:78]
	v_fma_f64 v[38:39], v[38:39], 2.0, -v[40:41]
	v_fma_f64 v[4:5], v[4:5], 2.0, -v[71:72]
	v_add_f64 v[77:78], v[14:15], -v[79:80]
	v_fma_f64 v[69:70], v[69:70], 2.0, -v[79:80]
	v_add_f64 v[90:91], v[67:68], -v[63:64]
	v_add_f64 v[6:7], v[75:76], v[6:7]
	v_fma_f64 v[12:13], v[12:13], 2.0, -v[0:1]
	v_add_f64 v[80:81], v[50:51], -v[65:66]
	v_fma_f64 v[10:11], v[10:11], 2.0, -v[92:93]
	v_add_f64 v[18:19], v[54:55], -v[18:19]
	v_add_f64 v[2:3], v[73:74], v[2:3]
	v_fma_f64 v[14:15], v[14:15], 2.0, -v[77:78]
	v_add_f64 v[115:116], v[16:17], -v[38:39]
	v_fma_f64 v[38:39], v[4:5], s[18:19], v[20:21]
	v_fma_f64 v[56:57], v[56:57], 2.0, -v[73:74]
	v_fma_f64 v[94:95], v[67:68], 2.0, -v[90:91]
	;; [unrolled: 1-line block ×3, first 2 shown]
	v_fma_f64 v[65:66], v[71:72], s[16:17], v[88:89]
	v_fma_f64 v[63:64], v[73:74], 2.0, -v[2:3]
	v_fma_f64 v[74:75], v[50:51], 2.0, -v[80:81]
	;; [unrolled: 1-line block ×3, first 2 shown]
	v_fma_f64 v[54:55], v[14:15], s[18:19], v[10:11]
	v_fma_f64 v[117:118], v[12:13], s[18:19], v[38:39]
	v_add_f64 v[52:53], v[36:37], -v[52:53]
	v_add_f64 v[100:101], v[56:57], -v[69:70]
	v_mul_f64 v[82:83], v[4:5], s[16:17]
	v_fma_f64 v[67:68], v[63:64], s[18:19], v[96:97]
	v_fma_f64 v[4:5], v[0:1], s[18:19], v[65:66]
	v_mul_f64 v[84:85], v[12:13], s[16:17]
	v_fma_f64 v[38:39], v[63:64], s[18:19], v[54:55]
	v_add_f64 v[64:65], v[94:95], -v[50:51]
	v_fma_f64 v[12:13], v[20:21], 2.0, -v[117:118]
	v_fma_f64 v[20:21], v[77:78], s[16:17], v[92:93]
	v_fma_f64 v[16:17], v[16:17], 2.0, -v[115:116]
	v_add_f64 v[119:120], v[58:59], -v[52:53]
	v_mul_f64 v[86:87], v[71:72], s[16:17]
	v_fma_f64 v[54:55], v[2:3], s[16:17], v[6:7]
	v_fma_f64 v[68:69], v[14:15], s[16:17], v[67:68]
	v_fma_f64 v[50:51], v[94:95], 2.0, -v[64:65]
	v_add_f64 v[94:95], v[90:91], -v[100:101]
	v_fma_f64 v[72:73], v[2:3], s[18:19], v[20:21]
	v_fma_f64 v[66:67], v[10:11], 2.0, -v[38:39]
	v_fma_f64 v[14:15], v[58:59], 2.0, -v[119:120]
	v_fma_f64 v[10:11], v[88:89], 2.0, -v[4:5]
	v_add_f64 v[2:3], v[80:81], v[18:19]
	v_fma_f64 v[78:79], v[77:78], s[16:17], v[54:55]
	v_add_f64 v[18:19], v[16:17], -v[50:51]
	v_fma_f64 v[50:51], v[90:91], 2.0, -v[94:95]
	v_fma_f64 v[76:77], v[92:93], 2.0, -v[72:73]
	;; [unrolled: 1-line block ×4, first 2 shown]
	v_fma_f64 v[58:59], v[66:67], s[2:3], v[12:13]
	v_mul_f64 v[100:101], v[0:1], s[16:17]
	v_fma_f64 v[0:1], v[80:81], 2.0, -v[2:3]
	v_fma_f64 v[80:81], v[6:7], 2.0, -v[78:79]
	;; [unrolled: 1-line block ×3, first 2 shown]
	v_fma_f64 v[16:17], v[50:51], s[18:19], v[14:15]
	v_fma_f64 v[54:55], v[76:77], s[4:5], v[10:11]
	v_add_f64 v[96:97], v[74:75], -v[56:57]
	v_fma_f64 v[56:57], v[38:39], s[6:7], v[117:118]
	v_fma_f64 v[20:21], v[70:71], s[4:5], v[58:59]
	;; [unrolled: 1-line block ×4, first 2 shown]
	v_mul_f64 v[88:89], v[50:51], s[16:17]
	v_fma_f64 v[16:17], v[0:1], s[18:19], v[16:17]
	v_fma_f64 v[54:55], v[80:81], s[2:3], v[54:55]
	v_add_f64 v[121:122], v[115:116], -v[96:97]
	v_fma_f64 v[56:57], v[68:69], s[2:3], v[56:57]
	v_mul_f64 v[90:91], v[0:1], s[16:17]
	v_fma_f64 v[0:1], v[2:3], s[18:19], v[58:59]
	v_fma_f64 v[50:51], v[78:79], s[4:5], v[92:93]
	v_fma_f64 v[12:13], v[12:13], 2.0, -v[20:21]
	v_fma_f64 v[14:15], v[14:15], 2.0, -v[16:17]
	;; [unrolled: 1-line block ×5, first 2 shown]
	v_mul_f64 v[92:93], v[94:95], s[16:17]
	v_mul_f64 v[94:95], v[2:3], s[16:17]
	v_fma_f64 v[2:3], v[119:120], 2.0, -v[0:1]
	v_fma_f64 v[4:5], v[4:5], 2.0, -v[50:51]
	v_mul_u32_u24_e32 v63, 0x120, v181
	v_or_b32_sdwa v63, v63, v182 dst_sel:DWORD dst_unused:UNUSED_PAD src0_sel:DWORD src1_sel:BYTE_0
	v_lshl_add_u32 v115, v63, 3, 0
	ds_write2_b64 v115, v[6:7], v[12:13] offset1:18
	ds_write2_b64 v115, v[14:15], v[10:11] offset0:36 offset1:54
	ds_write2_b64 v115, v[58:59], v[116:117] offset0:72 offset1:90
	;; [unrolled: 1-line block ×6, first 2 shown]
	v_add_u32_e32 v117, 0x400, v115
	v_add_u32_e32 v116, 0xc00, v109
	ds_write2_b64 v117, v[0:1], v[50:51] offset0:124 offset1:142
	s_waitcnt lgkmcnt(0)
	; wave barrier
	s_waitcnt lgkmcnt(0)
	ds_read2_b64 v[0:3], v60 offset0:32 offset1:86
	ds_read2_b64 v[4:7], v116 offset0:120 offset1:192
	ds_read_b64 v[56:57], v110
	ds_read2_b64 v[10:13], v62 offset0:118 offset1:172
	ds_read2_b64 v[14:17], v60 offset0:140 offset1:194
	;; [unrolled: 1-line block ×3, first 2 shown]
	ds_read_b64 v[54:55], v109
	ds_read_b64 v[58:59], v112
	;; [unrolled: 1-line block ×4, first 2 shown]
	s_and_saveexec_b64 s[16:17], s[0:1]
	s_cbranch_execz .LBB0_29
; %bb.28:
	ds_read_b64 v[42:43], v109 offset:4464
	ds_read_b64 v[50:51], v111 offset:2160
	;; [unrolled: 1-line block ×3, first 2 shown]
.LBB0_29:
	s_or_b64 exec, exec, s[16:17]
	v_mul_f64 v[8:9], v[8:9], v[24:25]
	v_fma_f64 v[24:25], v[32:33], 2.0, -v[34:35]
	v_fma_f64 v[32:33], v[36:37], 2.0, -v[52:53]
	;; [unrolled: 1-line block ×3, first 2 shown]
	s_waitcnt lgkmcnt(0)
	; wave barrier
	s_waitcnt lgkmcnt(0)
	v_fma_f64 v[8:9], v[26:27], v[22:23], v[8:9]
	v_add_f64 v[8:9], v[30:31], -v[8:9]
	v_add_f64 v[22:23], v[8:9], v[28:29]
	v_fma_f64 v[26:27], v[30:31], 2.0, -v[8:9]
	v_fma_f64 v[8:9], v[8:9], 2.0, -v[22:23]
	v_add_f64 v[24:25], v[26:27], -v[24:25]
	v_add_f64 v[28:29], v[22:23], v[100:101]
	v_add_f64 v[30:31], v[8:9], -v[84:85]
	v_add_f64 v[34:35], v[24:25], v[40:41]
	v_add_f64 v[28:29], v[86:87], v[28:29]
	v_fma_f64 v[26:27], v[26:27], 2.0, -v[24:25]
	v_add_u32_e32 v84, 0x1400, v109
	v_add_f64 v[30:31], v[82:83], v[30:31]
	v_fma_f64 v[24:25], v[24:25], 2.0, -v[34:35]
	v_fma_f64 v[22:23], v[22:23], 2.0, -v[28:29]
	v_add_f64 v[32:33], v[26:27], -v[32:33]
	v_fma_f64 v[52:53], v[78:79], s[10:11], v[28:29]
	v_add_u32_e32 v82, 0x800, v109
	v_add_u32_e32 v83, 0x1000, v109
	v_fma_f64 v[40:41], v[8:9], 2.0, -v[30:31]
	v_add_f64 v[8:9], v[34:35], v[94:95]
	v_add_f64 v[74:75], v[24:25], -v[90:91]
	v_fma_f64 v[78:79], v[80:81], s[4:5], v[22:23]
	v_fma_f64 v[68:69], v[68:69], s[6:7], v[30:31]
	v_fma_f64 v[26:27], v[26:27], 2.0, -v[32:33]
	v_fma_f64 v[70:71], v[70:71], s[2:3], v[40:41]
	v_add_f64 v[80:81], v[92:93], v[8:9]
	v_fma_f64 v[8:9], v[72:73], s[6:7], v[52:53]
	v_add_f64 v[52:53], v[32:33], v[64:65]
	v_add_f64 v[64:65], v[88:89], v[74:75]
	v_fma_f64 v[72:73], v[76:77], s[10:11], v[78:79]
	v_fma_f64 v[38:39], v[38:39], s[10:11], v[68:69]
	v_add_f64 v[36:37], v[26:27], -v[36:37]
	v_fma_f64 v[66:67], v[66:67], s[6:7], v[70:71]
	v_fma_f64 v[34:35], v[34:35], 2.0, -v[80:81]
	v_fma_f64 v[28:29], v[28:29], 2.0, -v[8:9]
	;; [unrolled: 1-line block ×8, first 2 shown]
	ds_write2_b64 v117, v[80:81], v[8:9] offset0:124 offset1:142
	ds_write2_b64 v115, v[34:35], v[28:29] offset0:108 offset1:126
	;; [unrolled: 1-line block ×7, first 2 shown]
	ds_write2_b64 v115, v[26:27], v[40:41] offset1:18
	s_waitcnt lgkmcnt(0)
	; wave barrier
	s_waitcnt lgkmcnt(0)
	ds_read2_b64 v[22:25], v82 offset0:32 offset1:86
	ds_read2_b64 v[26:29], v116 offset0:120 offset1:192
	ds_read_b64 v[66:67], v110
	ds_read2_b64 v[30:33], v83 offset0:118 offset1:172
	ds_read2_b64 v[34:37], v82 offset0:140 offset1:194
	;; [unrolled: 1-line block ×3, first 2 shown]
	ds_read_b64 v[64:65], v109
	ds_read_b64 v[68:69], v112
	;; [unrolled: 1-line block ×4, first 2 shown]
	s_and_saveexec_b64 s[2:3], s[0:1]
	s_cbranch_execz .LBB0_31
; %bb.30:
	ds_read_b64 v[46:47], v109 offset:4464
	ds_read_b64 v[8:9], v111 offset:2160
	;; [unrolled: 1-line block ×3, first 2 shown]
.LBB0_31:
	s_or_b64 exec, exec, s[2:3]
	s_and_saveexec_b64 s[2:3], vcc
	s_cbranch_execz .LBB0_34
; %bb.32:
	v_lshlrev_b32_e32 v52, 1, v107
	v_mov_b32_e32 v53, 0
	v_lshlrev_b64 v[74:75], 4, v[52:53]
	v_mov_b32_e32 v115, s9
	v_add_co_u32_e32 v52, vcc, s8, v74
	v_addc_co_u32_e32 v74, vcc, v115, v75, vcc
	v_add_co_u32_e32 v82, vcc, 0x11d0, v52
	v_addc_co_u32_e32 v83, vcc, 0, v74, vcc
	;; [unrolled: 2-line block ×3, first 2 shown]
	global_load_dwordx4 v[74:77], v[84:85], off offset:464
	global_load_dwordx4 v[78:81], v[82:83], off offset:16
	v_lshlrev_b32_e32 v52, 1, v105
	v_lshlrev_b64 v[82:83], 4, v[52:53]
	s_movk_i32 s2, 0x11d0
	v_add_co_u32_e32 v52, vcc, s8, v82
	v_addc_co_u32_e32 v82, vcc, v115, v83, vcc
	v_add_co_u32_e32 v90, vcc, s2, v52
	s_movk_i32 s6, 0x1000
	v_addc_co_u32_e32 v91, vcc, 0, v82, vcc
	v_add_co_u32_e32 v92, vcc, s6, v52
	v_addc_co_u32_e32 v93, vcc, 0, v82, vcc
	v_lshlrev_b32_e32 v52, 1, v104
	global_load_dwordx4 v[82:85], v[92:93], off offset:464
	global_load_dwordx4 v[86:89], v[90:91], off offset:16
	v_lshlrev_b64 v[90:91], 4, v[52:53]
	s_mov_b32 s5, 0xbfebb67a
	v_add_co_u32_e32 v52, vcc, s8, v90
	v_addc_co_u32_e32 v90, vcc, v115, v91, vcc
	v_add_co_u32_e32 v100, vcc, s2, v52
	v_addc_co_u32_e32 v101, vcc, 0, v90, vcc
	;; [unrolled: 2-line block ×3, first 2 shown]
	global_load_dwordx4 v[90:93], v[104:105], off offset:464
	global_load_dwordx4 v[94:97], v[100:101], off offset:16
	v_lshlrev_b32_e32 v52, 1, v108
	v_lshlrev_b64 v[100:101], 4, v[52:53]
	s_movk_i32 s7, 0x240
	v_add_co_u32_e32 v52, vcc, s8, v100
	v_addc_co_u32_e32 v105, vcc, v115, v101, vcc
	v_add_co_u32_e32 v100, vcc, s2, v52
	v_addc_co_u32_e32 v101, vcc, 0, v105, vcc
	;; [unrolled: 2-line block ×3, first 2 shown]
	global_load_dwordx4 v[107:110], v[104:105], off offset:464
	global_load_dwordx4 v[111:114], v[100:101], off offset:16
	v_lshlrev_b32_e32 v52, 1, v102
	v_lshlrev_b64 v[100:101], 4, v[52:53]
	v_add_co_u32_e32 v52, vcc, s8, v100
	v_addc_co_u32_e32 v105, vcc, v115, v101, vcc
	v_add_co_u32_e32 v100, vcc, s2, v52
	v_addc_co_u32_e32 v101, vcc, 0, v105, vcc
	;; [unrolled: 2-line block ×3, first 2 shown]
	global_load_dwordx4 v[115:118], v[104:105], off offset:464
	global_load_dwordx4 v[119:122], v[100:101], off offset:16
	s_mov_b32 s2, 0xe8584caa
	s_mov_b32 s3, 0x3febb67a
	;; [unrolled: 1-line block ×3, first 2 shown]
	s_waitcnt vmcnt(9)
	v_mul_f64 v[100:101], v[4:5], v[76:77]
	s_waitcnt vmcnt(8)
	v_mul_f64 v[104:105], v[20:21], v[80:81]
	s_waitcnt lgkmcnt(8)
	v_mul_f64 v[76:77], v[26:27], v[76:77]
	s_waitcnt lgkmcnt(4)
	v_mul_f64 v[80:81], v[40:41], v[80:81]
	v_fma_f64 v[26:27], v[26:27], v[74:75], v[100:101]
	v_fma_f64 v[40:41], v[40:41], v[78:79], v[104:105]
	v_fma_f64 v[4:5], v[4:5], v[74:75], -v[76:77]
	v_fma_f64 v[20:21], v[20:21], v[78:79], -v[80:81]
	v_add_f64 v[80:81], v[26:27], v[40:41]
	s_waitcnt vmcnt(7)
	v_mul_f64 v[74:75], v[16:17], v[84:85]
	v_mul_f64 v[76:77], v[36:37], v[84:85]
	s_waitcnt vmcnt(6)
	v_mul_f64 v[78:79], v[38:39], v[88:89]
	v_mul_f64 v[84:85], v[18:19], v[88:89]
	v_add_f64 v[88:89], v[4:5], v[20:21]
	v_fma_f64 v[123:124], v[36:37], v[82:83], v[74:75]
	v_add_f64 v[36:37], v[4:5], -v[20:21]
	s_waitcnt lgkmcnt(0)
	v_add_f64 v[74:75], v[72:73], v[26:27]
	v_fma_f64 v[72:73], v[80:81], -0.5, v[72:73]
	v_add_f64 v[26:27], v[26:27], -v[40:41]
	v_fma_f64 v[80:81], v[88:89], -0.5, v[62:63]
	v_fma_f64 v[84:85], v[38:39], v[86:87], v[84:85]
	s_waitcnt vmcnt(5)
	v_mul_f64 v[100:101], v[14:15], v[92:93]
	s_waitcnt vmcnt(4)
	v_mul_f64 v[104:105], v[12:13], v[96:97]
	v_fma_f64 v[76:77], v[16:17], v[82:83], -v[76:77]
	v_fma_f64 v[78:79], v[18:19], v[86:87], -v[78:79]
	v_add_f64 v[4:5], v[62:63], v[4:5]
	v_add_f64 v[18:19], v[74:75], v[40:41]
	v_fma_f64 v[38:39], v[36:37], s[2:3], v[72:73]
	v_fma_f64 v[74:75], v[36:37], s[4:5], v[72:73]
	;; [unrolled: 1-line block ×3, first 2 shown]
	v_add_f64 v[16:17], v[123:124], v[84:85]
	v_mul_f64 v[40:41], v[34:35], v[92:93]
	v_mul_f64 v[62:63], v[32:33], v[96:97]
	v_fma_f64 v[82:83], v[34:35], v[90:91], v[100:101]
	v_fma_f64 v[86:87], v[32:33], v[94:95], v[104:105]
	;; [unrolled: 1-line block ×3, first 2 shown]
	v_add_f64 v[26:27], v[76:77], v[78:79]
	v_add_f64 v[32:33], v[76:77], -v[78:79]
	v_fma_f64 v[34:35], v[16:17], -0.5, v[70:71]
	v_add_f64 v[16:17], v[4:5], v[20:21]
	v_fma_f64 v[20:21], v[14:15], v[90:91], -v[40:41]
	v_fma_f64 v[40:41], v[12:13], v[94:95], -v[62:63]
	v_add_f64 v[4:5], v[82:83], v[86:87]
	v_add_f64 v[12:13], v[70:71], v[123:124]
	v_fma_f64 v[26:27], v[26:27], -0.5, v[60:61]
	v_add_f64 v[70:71], v[123:124], -v[84:85]
	v_add_f64 v[60:61], v[60:61], v[76:77]
	v_fma_f64 v[14:15], v[32:33], s[2:3], v[34:35]
	v_fma_f64 v[34:35], v[32:33], s[4:5], v[34:35]
	s_waitcnt vmcnt(2)
	v_mul_f64 v[88:89], v[30:31], v[113:114]
	v_fma_f64 v[4:5], v[4:5], -0.5, v[68:69]
	v_add_f64 v[62:63], v[12:13], v[84:85]
	v_add_f64 v[68:69], v[68:69], v[82:83]
	v_fma_f64 v[12:13], v[70:71], s[4:5], v[26:27]
	v_fma_f64 v[32:33], v[70:71], s[2:3], v[26:27]
	v_add_f64 v[60:61], v[60:61], v[78:79]
	v_mul_f64 v[70:71], v[2:3], v[109:110]
	v_mul_f64 v[78:79], v[10:11], v[113:114]
	v_mul_f64 v[84:85], v[24:25], v[109:110]
	v_add_f64 v[76:77], v[20:21], -v[40:41]
	v_fma_f64 v[10:11], v[10:11], v[111:112], -v[88:89]
	v_add_f64 v[80:81], v[20:21], v[40:41]
	s_waitcnt vmcnt(1)
	v_mul_f64 v[88:89], v[22:23], v[117:118]
	s_waitcnt vmcnt(0)
	v_mul_f64 v[90:91], v[28:29], v[121:122]
	v_fma_f64 v[70:71], v[24:25], v[107:108], v[70:71]
	v_fma_f64 v[78:79], v[30:31], v[111:112], v[78:79]
	v_add_f64 v[30:31], v[68:69], v[86:87]
	v_mul_f64 v[68:69], v[0:1], v[117:118]
	v_fma_f64 v[84:85], v[2:3], v[107:108], -v[84:85]
	v_fma_f64 v[26:27], v[76:77], s[2:3], v[4:5]
	v_fma_f64 v[4:5], v[76:77], s[4:5], v[4:5]
	v_mul_f64 v[76:77], v[6:7], v[121:122]
	v_add_f64 v[82:83], v[82:83], -v[86:87]
	v_add_f64 v[86:87], v[70:71], v[78:79]
	v_add_f64 v[20:21], v[58:59], v[20:21]
	v_fma_f64 v[92:93], v[22:23], v[115:116], v[68:69]
	v_add_f64 v[22:23], v[84:85], v[10:11]
	v_fma_f64 v[80:81], v[80:81], -0.5, v[58:59]
	v_fma_f64 v[0:1], v[0:1], v[115:116], -v[88:89]
	v_fma_f64 v[76:77], v[28:29], v[119:120], v[76:77]
	v_fma_f64 v[6:7], v[6:7], v[119:120], -v[90:91]
	v_add_f64 v[58:59], v[84:85], -v[10:11]
	v_fma_f64 v[68:69], v[86:87], -0.5, v[66:67]
	v_add_f64 v[28:29], v[20:21], v[40:41]
	v_add_f64 v[20:21], v[66:67], v[70:71]
	v_fma_f64 v[40:41], v[22:23], -0.5, v[56:57]
	v_add_f64 v[66:67], v[70:71], -v[78:79]
	v_add_f64 v[70:71], v[56:57], v[84:85]
	v_fma_f64 v[24:25], v[82:83], s[4:5], v[80:81]
	v_fma_f64 v[2:3], v[82:83], s[2:3], v[80:81]
	v_add_f64 v[80:81], v[92:93], v[76:77]
	v_add_f64 v[84:85], v[0:1], v[6:7]
	v_fma_f64 v[22:23], v[58:59], s[2:3], v[68:69]
	v_fma_f64 v[58:59], v[58:59], s[4:5], v[68:69]
	v_add_f64 v[68:69], v[20:21], v[78:79]
	v_fma_f64 v[20:21], v[66:67], s[4:5], v[40:41]
	v_fma_f64 v[56:57], v[66:67], s[2:3], v[40:41]
	v_add_f64 v[66:67], v[70:71], v[10:11]
	v_add_f64 v[10:11], v[64:65], v[92:93]
	v_add_f64 v[82:83], v[0:1], -v[6:7]
	v_fma_f64 v[80:81], v[80:81], -0.5, v[64:65]
	v_fma_f64 v[40:41], v[84:85], -0.5, v[54:55]
	v_add_f64 v[64:65], v[92:93], -v[76:77]
	v_mad_u64_u32 v[70:71], s[10:11], s12, v102, 0
	v_add_f64 v[0:1], v[54:55], v[0:1]
	v_add_f64 v[86:87], v[10:11], v[76:77]
	v_mov_b32_e32 v10, v71
	v_mad_u64_u32 v[10:11], s[10:11], s13, v102, v[10:11]
	v_fma_f64 v[78:79], v[82:83], s[2:3], v[80:81]
	v_fma_f64 v[82:83], v[82:83], s[4:5], v[80:81]
	;; [unrolled: 1-line block ×4, first 2 shown]
	v_add_u32_e32 v40, 0x120, v102
	v_mov_b32_e32 v71, v10
	v_mad_u64_u32 v[10:11], s[10:11], s12, v40, 0
	v_add_f64 v[84:85], v[0:1], v[6:7]
	v_mov_b32_e32 v1, s15
	v_mad_u64_u32 v[40:41], s[10:11], s13, v40, v[11:12]
	v_or_b32_e32 v41, 0x240, v102
	v_add_co_u32_e32 v0, vcc, s14, v98
	v_lshlrev_b64 v[6:7], 4, v[70:71]
	v_mad_u64_u32 v[54:55], s[10:11], s12, v41, 0
	v_addc_co_u32_e32 v1, vcc, v1, v99, vcc
	v_add_co_u32_e32 v6, vcc, v0, v6
	v_addc_co_u32_e32 v7, vcc, v1, v7, vcc
	v_mov_b32_e32 v11, v40
	global_store_dwordx4 v[6:7], v[84:87], off
	v_lshlrev_b64 v[6:7], 4, v[10:11]
	v_mov_b32_e32 v10, v55
	v_mad_u64_u32 v[10:11], s[10:11], s13, v41, v[10:11]
	v_add_co_u32_e32 v6, vcc, v0, v6
	v_mov_b32_e32 v55, v10
	v_mad_u64_u32 v[10:11], s[10:11], s12, v103, 0
	v_addc_co_u32_e32 v7, vcc, v1, v7, vcc
	v_mad_u64_u32 v[40:41], s[10:11], s13, v103, v[11:12]
	v_add_u32_e32 v41, 0x156, v102
	global_store_dwordx4 v[6:7], v[80:83], off
	v_lshlrev_b64 v[6:7], 4, v[54:55]
	v_mad_u64_u32 v[54:55], s[10:11], s12, v41, 0
	v_add_co_u32_e32 v6, vcc, v0, v6
	v_addc_co_u32_e32 v7, vcc, v1, v7, vcc
	v_mov_b32_e32 v11, v40
	global_store_dwordx4 v[6:7], v[76:79], off
	v_lshlrev_b64 v[6:7], 4, v[10:11]
	v_mov_b32_e32 v10, v55
	v_mad_u64_u32 v[10:11], s[10:11], s13, v41, v[10:11]
	v_add_u32_e32 v40, 0x276, v102
	v_add_co_u32_e32 v6, vcc, v0, v6
	v_mov_b32_e32 v55, v10
	v_mad_u64_u32 v[10:11], s[10:11], s12, v40, 0
	v_addc_co_u32_e32 v7, vcc, v1, v7, vcc
	v_mad_u64_u32 v[40:41], s[10:11], s13, v40, v[11:12]
	v_add_u32_e32 v41, 0x6c, v102
	global_store_dwordx4 v[6:7], v[66:69], off
	v_lshlrev_b64 v[6:7], 4, v[54:55]
	v_mad_u64_u32 v[54:55], s[10:11], s12, v41, 0
	v_add_co_u32_e32 v6, vcc, v0, v6
	v_addc_co_u32_e32 v7, vcc, v1, v7, vcc
	v_mov_b32_e32 v11, v40
	global_store_dwordx4 v[6:7], v[56:59], off
	v_lshlrev_b64 v[6:7], 4, v[10:11]
	v_mov_b32_e32 v10, v55
	v_mad_u64_u32 v[10:11], s[10:11], s13, v41, v[10:11]
	v_add_co_u32_e32 v6, vcc, v0, v6
	v_addc_co_u32_e32 v7, vcc, v1, v7, vcc
	global_store_dwordx4 v[6:7], v[20:23], off
	v_mov_b32_e32 v55, v10
	v_add_u32_e32 v20, 0x18c, v102
	v_mad_u64_u32 v[10:11], s[10:11], s12, v20, 0
	v_lshlrev_b64 v[6:7], 4, v[54:55]
	v_add_u32_e32 v23, 0x2ac, v102
	v_mad_u64_u32 v[20:21], s[10:11], s13, v20, v[11:12]
	v_add_co_u32_e32 v6, vcc, v0, v6
	v_addc_co_u32_e32 v7, vcc, v1, v7, vcc
	v_mov_b32_e32 v11, v20
	v_mad_u64_u32 v[21:22], s[10:11], s12, v23, 0
	global_store_dwordx4 v[6:7], v[28:31], off
	v_lshlrev_b64 v[6:7], 4, v[10:11]
	v_mov_b32_e32 v10, v22
	v_add_co_u32_e32 v6, vcc, v0, v6
	v_addc_co_u32_e32 v7, vcc, v1, v7, vcc
	global_store_dwordx4 v[6:7], v[2:5], off
	v_add_u32_e32 v6, 0xa2, v102
	v_mad_u64_u32 v[10:11], s[10:11], s13, v23, v[10:11]
	v_mad_u64_u32 v[4:5], s[10:11], s12, v6, 0
	v_mov_b32_e32 v22, v10
	v_add_u32_e32 v10, 0x1c2, v102
	v_mad_u64_u32 v[5:6], s[10:11], s13, v6, v[5:6]
	v_lshlrev_b64 v[2:3], 4, v[21:22]
	v_mad_u64_u32 v[6:7], s[10:11], s12, v10, 0
	v_add_co_u32_e32 v2, vcc, v0, v2
	v_addc_co_u32_e32 v3, vcc, v1, v3, vcc
	global_store_dwordx4 v[2:3], v[24:27], off
	v_lshlrev_b64 v[2:3], 4, v[4:5]
	v_mov_b32_e32 v4, v7
	v_mad_u64_u32 v[4:5], s[10:11], s13, v10, v[4:5]
	v_add_co_u32_e32 v2, vcc, v0, v2
	v_addc_co_u32_e32 v3, vcc, v1, v3, vcc
	v_mov_b32_e32 v7, v4
	global_store_dwordx4 v[2:3], v[60:63], off
	v_lshlrev_b64 v[2:3], 4, v[6:7]
	v_add_u32_e32 v6, 0x2e2, v102
	v_mad_u64_u32 v[4:5], s[10:11], s12, v6, 0
	v_add_u32_e32 v7, 0xd8, v102
	s_mov_b32 s10, 0x38e38e39
	v_mul_hi_u32 v10, v7, s10
	v_mad_u64_u32 v[5:6], s[10:11], s13, v6, v[5:6]
	v_add_co_u32_e32 v2, vcc, v0, v2
	v_lshrrev_b32_e32 v6, 6, v10
	v_mad_u32_u24 v10, v6, s7, v7
	v_mad_u64_u32 v[6:7], s[10:11], s12, v10, 0
	v_addc_co_u32_e32 v3, vcc, v1, v3, vcc
	global_store_dwordx4 v[2:3], v[32:35], off
	v_lshlrev_b64 v[2:3], 4, v[4:5]
	v_mov_b32_e32 v4, v7
	v_mad_u64_u32 v[4:5], s[10:11], s13, v10, v[4:5]
	v_add_co_u32_e32 v2, vcc, v0, v2
	v_addc_co_u32_e32 v3, vcc, v1, v3, vcc
	v_mov_b32_e32 v7, v4
	global_store_dwordx4 v[2:3], v[12:15], off
	v_lshlrev_b64 v[2:3], 4, v[6:7]
	v_add_u32_e32 v6, 0x120, v10
	v_mad_u64_u32 v[4:5], s[10:11], s12, v6, 0
	v_add_u32_e32 v10, 0x240, v10
	v_add_co_u32_e32 v2, vcc, v0, v2
	v_mad_u64_u32 v[5:6], s[10:11], s13, v6, v[5:6]
	v_mad_u64_u32 v[6:7], s[10:11], s12, v10, 0
	v_addc_co_u32_e32 v3, vcc, v1, v3, vcc
	global_store_dwordx4 v[2:3], v[16:19], off
	v_lshlrev_b64 v[2:3], 4, v[4:5]
	v_mov_b32_e32 v4, v7
	v_mad_u64_u32 v[4:5], s[10:11], s13, v10, v[4:5]
	v_add_co_u32_e32 v2, vcc, v0, v2
	v_addc_co_u32_e32 v3, vcc, v1, v3, vcc
	v_mov_b32_e32 v7, v4
	global_store_dwordx4 v[2:3], v[72:75], off
	v_lshlrev_b64 v[2:3], 4, v[6:7]
	v_add_co_u32_e32 v2, vcc, v0, v2
	v_addc_co_u32_e32 v3, vcc, v1, v3, vcc
	global_store_dwordx4 v[2:3], v[36:39], off
	s_and_b64 exec, exec, s[0:1]
	s_cbranch_execz .LBB0_34
; %bb.33:
	v_subrev_u32_e32 v2, 18, v102
	v_cndmask_b32_e64 v2, v2, v106, s[0:1]
	v_lshlrev_b32_e32 v52, 1, v2
	v_lshlrev_b64 v[2:3], 4, v[52:53]
	v_mov_b32_e32 v4, s9
	v_add_co_u32_e32 v2, vcc, s8, v2
	v_addc_co_u32_e32 v7, vcc, v4, v3, vcc
	v_add_co_u32_e32 v6, vcc, 0x11d0, v2
	s_mov_b64 s[0:1], vcc
	v_add_co_u32_e32 v2, vcc, s6, v2
	v_addc_co_u32_e32 v3, vcc, 0, v7, vcc
	v_addc_co_u32_e64 v7, vcc, 0, v7, s[0:1]
	global_load_dwordx4 v[2:5], v[2:3], off offset:464
	v_add_u32_e32 v23, 0x22e, v102
	global_load_dwordx4 v[10:13], v[6:7], off offset:16
	v_mad_u64_u32 v[6:7], s[0:1], s12, v106, 0
	v_add_u32_e32 v25, 0x34e, v102
	v_mad_u64_u32 v[14:15], s[0:1], s12, v23, 0
	v_mad_u64_u32 v[18:19], s[0:1], s13, v106, v[7:8]
	;; [unrolled: 1-line block ×3, first 2 shown]
	v_mov_b32_e32 v7, v15
	v_mad_u64_u32 v[23:24], s[0:1], s13, v23, v[7:8]
	v_mov_b32_e32 v15, v17
	v_mov_b32_e32 v7, v18
	v_lshlrev_b64 v[6:7], 4, v[6:7]
	v_add_co_u32_e32 v29, vcc, v0, v6
	v_addc_co_u32_e32 v30, vcc, v1, v7, vcc
	s_waitcnt vmcnt(1)
	v_mul_f64 v[19:20], v[46:47], v[4:5]
	v_mul_f64 v[4:5], v[42:43], v[4:5]
	s_waitcnt vmcnt(0)
	v_mul_f64 v[21:22], v[48:49], v[12:13]
	v_mul_f64 v[12:13], v[44:45], v[12:13]
	v_fma_f64 v[19:20], v[42:43], v[2:3], -v[19:20]
	v_fma_f64 v[2:3], v[46:47], v[2:3], v[4:5]
	v_fma_f64 v[4:5], v[44:45], v[10:11], -v[21:22]
	v_fma_f64 v[10:11], v[48:49], v[10:11], v[12:13]
	v_mad_u64_u32 v[12:13], s[0:1], s13, v25, v[15:16]
	v_mov_b32_e32 v15, v23
	v_lshlrev_b64 v[14:15], 4, v[14:15]
	v_mov_b32_e32 v17, v12
	v_add_f64 v[23:24], v[50:51], v[19:20]
	v_add_f64 v[12:13], v[19:20], v[4:5]
	;; [unrolled: 1-line block ×4, first 2 shown]
	v_add_f64 v[25:26], v[2:3], -v[10:11]
	v_add_f64 v[18:19], v[19:20], -v[4:5]
	v_lshlrev_b64 v[16:17], 4, v[16:17]
	v_add_co_u32_e32 v14, vcc, v0, v14
	v_fma_f64 v[12:13], v[12:13], -0.5, v[50:51]
	v_fma_f64 v[20:21], v[21:22], -0.5, v[8:9]
	v_add_f64 v[2:3], v[23:24], v[4:5]
	v_add_f64 v[4:5], v[27:28], v[10:11]
	v_addc_co_u32_e32 v15, vcc, v1, v15, vcc
	v_add_co_u32_e32 v0, vcc, v0, v16
	v_fma_f64 v[6:7], v[25:26], s[2:3], v[12:13]
	v_fma_f64 v[8:9], v[18:19], s[4:5], v[20:21]
	;; [unrolled: 1-line block ×4, first 2 shown]
	v_addc_co_u32_e32 v1, vcc, v1, v17, vcc
	global_store_dwordx4 v[29:30], v[2:5], off
	global_store_dwordx4 v[14:15], v[6:9], off
	;; [unrolled: 1-line block ×3, first 2 shown]
.LBB0_34:
	s_endpgm
	.section	.rodata,"a",@progbits
	.p2align	6, 0x0
	.amdhsa_kernel fft_rtc_fwd_len864_factors_3_6_16_3_wgs_54_tpt_54_halfLds_dp_ip_CI_sbrr_dirReg
		.amdhsa_group_segment_fixed_size 0
		.amdhsa_private_segment_fixed_size 0
		.amdhsa_kernarg_size 88
		.amdhsa_user_sgpr_count 6
		.amdhsa_user_sgpr_private_segment_buffer 1
		.amdhsa_user_sgpr_dispatch_ptr 0
		.amdhsa_user_sgpr_queue_ptr 0
		.amdhsa_user_sgpr_kernarg_segment_ptr 1
		.amdhsa_user_sgpr_dispatch_id 0
		.amdhsa_user_sgpr_flat_scratch_init 0
		.amdhsa_user_sgpr_private_segment_size 0
		.amdhsa_uses_dynamic_stack 0
		.amdhsa_system_sgpr_private_segment_wavefront_offset 0
		.amdhsa_system_sgpr_workgroup_id_x 1
		.amdhsa_system_sgpr_workgroup_id_y 0
		.amdhsa_system_sgpr_workgroup_id_z 0
		.amdhsa_system_sgpr_workgroup_info 0
		.amdhsa_system_vgpr_workitem_id 0
		.amdhsa_next_free_vgpr 183
		.amdhsa_next_free_sgpr 24
		.amdhsa_reserve_vcc 1
		.amdhsa_reserve_flat_scratch 0
		.amdhsa_float_round_mode_32 0
		.amdhsa_float_round_mode_16_64 0
		.amdhsa_float_denorm_mode_32 3
		.amdhsa_float_denorm_mode_16_64 3
		.amdhsa_dx10_clamp 1
		.amdhsa_ieee_mode 1
		.amdhsa_fp16_overflow 0
		.amdhsa_exception_fp_ieee_invalid_op 0
		.amdhsa_exception_fp_denorm_src 0
		.amdhsa_exception_fp_ieee_div_zero 0
		.amdhsa_exception_fp_ieee_overflow 0
		.amdhsa_exception_fp_ieee_underflow 0
		.amdhsa_exception_fp_ieee_inexact 0
		.amdhsa_exception_int_div_zero 0
	.end_amdhsa_kernel
	.text
.Lfunc_end0:
	.size	fft_rtc_fwd_len864_factors_3_6_16_3_wgs_54_tpt_54_halfLds_dp_ip_CI_sbrr_dirReg, .Lfunc_end0-fft_rtc_fwd_len864_factors_3_6_16_3_wgs_54_tpt_54_halfLds_dp_ip_CI_sbrr_dirReg
                                        ; -- End function
	.section	.AMDGPU.csdata,"",@progbits
; Kernel info:
; codeLenInByte = 11152
; NumSgprs: 28
; NumVgprs: 183
; ScratchSize: 0
; MemoryBound: 1
; FloatMode: 240
; IeeeMode: 1
; LDSByteSize: 0 bytes/workgroup (compile time only)
; SGPRBlocks: 3
; VGPRBlocks: 45
; NumSGPRsForWavesPerEU: 28
; NumVGPRsForWavesPerEU: 183
; Occupancy: 1
; WaveLimiterHint : 1
; COMPUTE_PGM_RSRC2:SCRATCH_EN: 0
; COMPUTE_PGM_RSRC2:USER_SGPR: 6
; COMPUTE_PGM_RSRC2:TRAP_HANDLER: 0
; COMPUTE_PGM_RSRC2:TGID_X_EN: 1
; COMPUTE_PGM_RSRC2:TGID_Y_EN: 0
; COMPUTE_PGM_RSRC2:TGID_Z_EN: 0
; COMPUTE_PGM_RSRC2:TIDIG_COMP_CNT: 0
	.type	__hip_cuid_96c00bca5e3d151f,@object ; @__hip_cuid_96c00bca5e3d151f
	.section	.bss,"aw",@nobits
	.globl	__hip_cuid_96c00bca5e3d151f
__hip_cuid_96c00bca5e3d151f:
	.byte	0                               ; 0x0
	.size	__hip_cuid_96c00bca5e3d151f, 1

	.ident	"AMD clang version 19.0.0git (https://github.com/RadeonOpenCompute/llvm-project roc-6.4.0 25133 c7fe45cf4b819c5991fe208aaa96edf142730f1d)"
	.section	".note.GNU-stack","",@progbits
	.addrsig
	.addrsig_sym __hip_cuid_96c00bca5e3d151f
	.amdgpu_metadata
---
amdhsa.kernels:
  - .args:
      - .actual_access:  read_only
        .address_space:  global
        .offset:         0
        .size:           8
        .value_kind:     global_buffer
      - .offset:         8
        .size:           8
        .value_kind:     by_value
      - .actual_access:  read_only
        .address_space:  global
        .offset:         16
        .size:           8
        .value_kind:     global_buffer
      - .actual_access:  read_only
        .address_space:  global
        .offset:         24
        .size:           8
        .value_kind:     global_buffer
      - .offset:         32
        .size:           8
        .value_kind:     by_value
      - .actual_access:  read_only
        .address_space:  global
        .offset:         40
        .size:           8
        .value_kind:     global_buffer
      - .actual_access:  read_only
        .address_space:  global
        .offset:         48
        .size:           8
        .value_kind:     global_buffer
      - .offset:         56
        .size:           4
        .value_kind:     by_value
      - .actual_access:  read_only
        .address_space:  global
        .offset:         64
        .size:           8
        .value_kind:     global_buffer
      - .actual_access:  read_only
        .address_space:  global
        .offset:         72
        .size:           8
        .value_kind:     global_buffer
      - .address_space:  global
        .offset:         80
        .size:           8
        .value_kind:     global_buffer
    .group_segment_fixed_size: 0
    .kernarg_segment_align: 8
    .kernarg_segment_size: 88
    .language:       OpenCL C
    .language_version:
      - 2
      - 0
    .max_flat_workgroup_size: 54
    .name:           fft_rtc_fwd_len864_factors_3_6_16_3_wgs_54_tpt_54_halfLds_dp_ip_CI_sbrr_dirReg
    .private_segment_fixed_size: 0
    .sgpr_count:     28
    .sgpr_spill_count: 0
    .symbol:         fft_rtc_fwd_len864_factors_3_6_16_3_wgs_54_tpt_54_halfLds_dp_ip_CI_sbrr_dirReg.kd
    .uniform_work_group_size: 1
    .uses_dynamic_stack: false
    .vgpr_count:     183
    .vgpr_spill_count: 0
    .wavefront_size: 64
amdhsa.target:   amdgcn-amd-amdhsa--gfx906
amdhsa.version:
  - 1
  - 2
...

	.end_amdgpu_metadata
